;; amdgpu-corpus repo=ROCm/rocSPARSE kind=compiled arch=gfx1250 opt=O3
	.amdgcn_target "amdgcn-amd-amdhsa--gfx1250"
	.amdhsa_code_object_version 6
	.section	.text._ZN9rocsparseL31gebsrmm_general_blockdim_kernelILi32ELi32EfEEv20rocsparse_direction_20rocsparse_operation_iiNS_24const_host_device_scalarIT1_EEPKiS7_PKS4_iiS9_lS5_PS4_l21rocsparse_index_base_b,"axG",@progbits,_ZN9rocsparseL31gebsrmm_general_blockdim_kernelILi32ELi32EfEEv20rocsparse_direction_20rocsparse_operation_iiNS_24const_host_device_scalarIT1_EEPKiS7_PKS4_iiS9_lS5_PS4_l21rocsparse_index_base_b,comdat
	.globl	_ZN9rocsparseL31gebsrmm_general_blockdim_kernelILi32ELi32EfEEv20rocsparse_direction_20rocsparse_operation_iiNS_24const_host_device_scalarIT1_EEPKiS7_PKS4_iiS9_lS5_PS4_l21rocsparse_index_base_b ; -- Begin function _ZN9rocsparseL31gebsrmm_general_blockdim_kernelILi32ELi32EfEEv20rocsparse_direction_20rocsparse_operation_iiNS_24const_host_device_scalarIT1_EEPKiS7_PKS4_iiS9_lS5_PS4_l21rocsparse_index_base_b
	.p2align	8
	.type	_ZN9rocsparseL31gebsrmm_general_blockdim_kernelILi32ELi32EfEEv20rocsparse_direction_20rocsparse_operation_iiNS_24const_host_device_scalarIT1_EEPKiS7_PKS4_iiS9_lS5_PS4_l21rocsparse_index_base_b,@function
_ZN9rocsparseL31gebsrmm_general_blockdim_kernelILi32ELi32EfEEv20rocsparse_direction_20rocsparse_operation_iiNS_24const_host_device_scalarIT1_EEPKiS7_PKS4_iiS9_lS5_PS4_l21rocsparse_index_base_b: ; @_ZN9rocsparseL31gebsrmm_general_blockdim_kernelILi32ELi32EfEEv20rocsparse_direction_20rocsparse_operation_iiNS_24const_host_device_scalarIT1_EEPKiS7_PKS4_iiS9_lS5_PS4_l21rocsparse_index_base_b
; %bb.0:
	s_clause 0x2
	s_load_b64 s[2:3], s[0:1], 0x60
	s_load_b64 s[20:21], s[0:1], 0x10
	s_load_b128 s[4:7], s[0:1], 0x40
	s_wait_kmcnt 0x0
	s_bitcmp1_b32 s3, 0
	s_cselect_b32 s3, -1, 0
	s_delay_alu instid0(SALU_CYCLE_1)
	s_and_b32 vcc_lo, exec_lo, s3
	s_xor_b32 s3, s3, -1
	s_cbranch_vccnz .LBB0_2
; %bb.1:
	s_load_b32 s20, s[20:21], 0x0
.LBB0_2:
	s_and_not1_b32 vcc_lo, exec_lo, s3
	s_cbranch_vccnz .LBB0_4
; %bb.3:
	s_load_b32 s6, s[6:7], 0x0
.LBB0_4:
	s_wait_kmcnt 0x0
	s_cmp_eq_f32 s20, 0
	s_cselect_b32 s3, -1, 0
	s_cmp_eq_f32 s6, 1.0
	s_cselect_b32 s7, -1, 0
	s_delay_alu instid0(SALU_CYCLE_1) | instskip(NEXT) | instid1(SALU_CYCLE_1)
	s_and_b32 s3, s3, s7
	s_and_b32 vcc_lo, exec_lo, s3
	s_mov_b32 s3, 0
	s_cbranch_vccnz .LBB0_47
; %bb.5:
	s_load_b128 s[12:15], s[0:1], 0x0
	s_bfe_u32 s7, ttmp6, 0x4000c
	s_and_b32 s9, ttmp6, 15
	s_add_co_i32 s7, s7, 1
	s_getreg_b32 s8, hwreg(HW_REG_IB_STS2, 6, 4)
	s_mul_i32 s7, ttmp9, s7
	s_delay_alu instid0(SALU_CYCLE_1)
	s_add_co_i32 s9, s9, s7
	s_cmp_eq_u32 s8, 0
	s_mov_b32 s7, 0
	s_cselect_b32 s24, ttmp9, s9
	s_wait_kmcnt 0x0
	s_cmp_lt_i32 s24, s14
	s_cselect_b32 s26, -1, 0
	s_cmp_ge_i32 s24, s14
	s_cbranch_scc1 .LBB0_7
; %bb.6:
	s_load_b64 s[10:11], s[0:1], 0x18
	s_ashr_i32 s25, s24, 31
	s_delay_alu instid0(SALU_CYCLE_1)
	s_lshl_b64 s[16:17], s[24:25], 2
	s_wait_kmcnt 0x0
	s_add_nc_u64 s[10:11], s[10:11], s[16:17]
	s_load_b64 s[16:17], s[10:11], 0x0
	s_wait_kmcnt 0x0
	s_sub_co_i32 s3, s16, s2
	s_sub_co_i32 s7, s17, s2
.LBB0_7:
	s_load_b64 s[22:23], s[0:1], 0x30
	s_wait_kmcnt 0x0
	s_cmp_lt_i32 s22, 1
	s_cbranch_scc1 .LBB0_47
; %bb.8:
	s_bfe_u32 s9, ttmp6, 0x40010
	s_load_b128 s[16:19], s[0:1], 0x50
	s_add_co_i32 s9, s9, 1
	s_bfe_u32 s10, ttmp6, 0x40004
	s_mul_i32 s9, ttmp7, s9
	v_bfe_u32 v8, v0, 10, 10
	s_add_co_i32 s10, s10, s9
	s_cmp_eq_u32 s8, 0
	v_and_b32_e32 v9, 0x3ff, v0
	s_cselect_b32 s8, ttmp7, s10
	s_cmp_lt_i32 s3, s7
	v_lshl_add_u32 v2, s8, 5, v8
	s_clause 0x1
	s_load_b128 s[8:11], s[0:1], 0x20
	s_load_b64 s[28:29], s[0:1], 0x38
	v_mad_u32 v0, s3, s22, v9
	v_lshlrev_b32_e32 v11, 7, v8
	s_mov_b32 s14, 0
	v_dual_ashrrev_i32 v3, 31, v2 :: v_dual_lshlrev_b32 v10, 2, v9
	s_wait_xcnt 0x0
	v_cmp_gt_i32_e64 s0, s15, v2
	s_delay_alu instid0(VALU_DEP_2)
	v_mul_u64_e32 v[4:5], s[4:5], v[2:3]
	s_wait_kmcnt 0x0
	v_mul_u64_e32 v[6:7], s[18:19], v[2:3]
	s_cselect_b32 s19, -1, 0
	s_cmp_gt_i32 s23, 0
	v_mad_u32 v16, s23, v0, v8
	s_cselect_b32 s21, -1, 0
	s_cmp_lg_u32 s13, 0x6f
	v_or_b32_e32 v1, 0x1000, v10
	s_mul_i32 s18, s22, s24
	s_cselect_b32 s24, -1, 0
	s_cmp_lg_u32 s12, 0
	s_delay_alu instid0(VALU_DEP_1)
	v_dual_add_nc_u32 v12, v10, v11 :: v_dual_add_nc_u32 v15, v1, v11
	s_cselect_b32 s15, -1, 0
	s_and_b32 s25, s26, s0
	s_cmp_neq_f32 s6, 0
	v_add_nc_u32_e32 v13, 0x400, v10
	v_add_nc_u32_e32 v14, 0x800, v10
	v_lshl_add_u64 v[0:1], v[2:3], 2, s[28:29]
	v_add_nc_u32_e32 v17, 0xc00, v10
	s_mul_i32 s26, s23, s22
	v_lshl_add_u64 v[2:3], v[4:5], 2, s[28:29]
	v_lshl_add_u64 v[4:5], v[6:7], 2, s[16:17]
	s_cselect_b32 s16, -1, 0
	s_lshl_b32 s17, s23, 5
	s_branch .LBB0_10
.LBB0_9:                                ;   in Loop: Header=BB0_10 Depth=1
	s_wait_xcnt 0x0
	s_or_b32 exec_lo, exec_lo, s1
	v_add_nc_u32_e32 v16, s17, v16
	s_add_co_i32 s14, s14, 32
	s_delay_alu instid0(SALU_CYCLE_1)
	s_cmp_lt_i32 s14, s22
	s_cbranch_scc0 .LBB0_47
.LBB0_10:                               ; =>This Loop Header: Depth=1
                                        ;     Child Loop BB0_13 Depth 2
                                        ;       Child Loop BB0_16 Depth 3
	v_dual_add_nc_u32 v6, s14, v9 :: v_dual_mov_b32 v18, 0
	s_and_not1_b32 vcc_lo, exec_lo, s19
	s_delay_alu instid0(VALU_DEP_1)
	v_cmp_gt_i32_e64 s1, s22, v6
	s_cbranch_vccnz .LBB0_42
; %bb.11:                               ;   in Loop: Header=BB0_10 Depth=1
	v_dual_mov_b32 v18, 0 :: v_dual_mov_b32 v7, v16
	s_mov_b32 s12, s3
	s_branch .LBB0_13
.LBB0_12:                               ;   in Loop: Header=BB0_13 Depth=2
	v_add_nc_u32_e32 v7, s26, v7
	s_add_co_i32 s12, s12, 1
	s_delay_alu instid0(SALU_CYCLE_1)
	s_cmp_ge_i32 s12, s7
	s_cbranch_scc1 .LBB0_42
.LBB0_13:                               ;   Parent Loop BB0_10 Depth=1
                                        ; =>  This Loop Header: Depth=2
                                        ;       Child Loop BB0_16 Depth 3
	s_and_not1_b32 vcc_lo, exec_lo, s21
	s_cbranch_vccnz .LBB0_12
; %bb.14:                               ;   in Loop: Header=BB0_13 Depth=2
	s_ashr_i32 s13, s12, 31
	s_mov_b32 s27, 0
	s_lshl_b64 s[28:29], s[12:13], 2
	s_delay_alu instid0(SALU_CYCLE_1) | instskip(SKIP_3) | instid1(SALU_CYCLE_1)
	s_add_nc_u64 s[28:29], s[8:9], s[28:29]
	s_load_b32 s13, s[28:29], 0x0
	s_wait_kmcnt 0x0
	s_sub_co_i32 s13, s13, s2
	v_mad_u32 v19, s13, s23, v9
	s_mul_i32 s13, s12, s23
	s_branch .LBB0_16
.LBB0_15:                               ;   in Loop: Header=BB0_16 Depth=3
	s_wait_xcnt 0x0
	s_or_b32 exec_lo, exec_lo, s29
	s_wait_loadcnt 0x0
	ds_store_b32 v12, v21
	s_wait_dscnt 0x0
	s_barrier_signal -1
	s_barrier_wait -1
	ds_load_2addr_b32 v[28:29], v10 offset1:32
	ds_load_b128 v[20:23], v11 offset:4096
	ds_load_2addr_b32 v[30:31], v10 offset0:64 offset1:96
	ds_load_b128 v[24:27], v11 offset:4112
	ds_load_2addr_b32 v[32:33], v10 offset0:128 offset1:160
	s_add_co_i32 s27, s27, 32
	s_delay_alu instid0(SALU_CYCLE_1) | instskip(SKIP_2) | instid1(VALU_DEP_1)
	s_cmp_ge_i32 s27, s23
	s_wait_dscnt 0x3
	v_fmac_f32_e32 v18, v28, v20
	v_fmac_f32_e32 v18, v29, v21
	ds_load_2addr_b32 v[28:29], v10 offset0:192 offset1:224
	s_wait_dscnt 0x3
	v_fmac_f32_e32 v18, v30, v22
	s_delay_alu instid0(VALU_DEP_1) | instskip(SKIP_4) | instid1(VALU_DEP_1)
	v_fmac_f32_e32 v18, v31, v23
	ds_load_b128 v[20:23], v11 offset:4128
	ds_load_2addr_b32 v[30:31], v13 offset1:32
	s_wait_dscnt 0x3
	v_fmac_f32_e32 v18, v32, v24
	v_fmac_f32_e32 v18, v33, v25
	ds_load_2addr_b32 v[32:33], v13 offset0:64 offset1:96
	s_wait_dscnt 0x3
	v_fmac_f32_e32 v18, v28, v26
	s_delay_alu instid0(VALU_DEP_1) | instskip(SKIP_4) | instid1(VALU_DEP_1)
	v_fmac_f32_e32 v18, v29, v27
	ds_load_b128 v[24:27], v11 offset:4144
	ds_load_2addr_b32 v[28:29], v13 offset0:128 offset1:160
	s_wait_dscnt 0x3
	v_fmac_f32_e32 v18, v30, v20
	v_fmac_f32_e32 v18, v31, v21
	ds_load_2addr_b32 v[30:31], v13 offset0:192 offset1:224
	s_wait_dscnt 0x3
	v_fmac_f32_e32 v18, v32, v22
	s_delay_alu instid0(VALU_DEP_1) | instskip(SKIP_4) | instid1(VALU_DEP_1)
	v_fmac_f32_e32 v18, v33, v23
	ds_load_2addr_b32 v[32:33], v14 offset1:32
	ds_load_b128 v[20:23], v11 offset:4160
	s_wait_dscnt 0x3
	v_fmac_f32_e32 v18, v28, v24
	v_fmac_f32_e32 v18, v29, v25
	ds_load_2addr_b32 v[28:29], v14 offset0:64 offset1:96
	s_wait_dscnt 0x3
	v_fmac_f32_e32 v18, v30, v26
	s_delay_alu instid0(VALU_DEP_1) | instskip(SKIP_4) | instid1(VALU_DEP_1)
	v_fmac_f32_e32 v18, v31, v27
	ds_load_2addr_b32 v[30:31], v14 offset0:128 offset1:160
	ds_load_b128 v[24:27], v11 offset:4176
	s_wait_dscnt 0x3
	v_fmac_f32_e32 v18, v32, v20
	v_fmac_f32_e32 v18, v33, v21
	ds_load_2addr_b32 v[32:33], v14 offset0:192 offset1:224
	s_wait_dscnt 0x3
	v_fmac_f32_e32 v18, v28, v22
	s_delay_alu instid0(VALU_DEP_1) | instskip(SKIP_4) | instid1(VALU_DEP_1)
	v_fmac_f32_e32 v18, v29, v23
	ds_load_2addr_b32 v[28:29], v17 offset1:32
	ds_load_b128 v[20:23], v11 offset:4192
	s_wait_dscnt 0x3
	v_fmac_f32_e32 v18, v30, v24
	v_fmac_f32_e32 v18, v31, v25
	ds_load_2addr_b32 v[30:31], v17 offset0:64 offset1:96
	s_wait_dscnt 0x3
	v_fmac_f32_e32 v18, v32, v26
	s_delay_alu instid0(VALU_DEP_1) | instskip(SKIP_4) | instid1(VALU_DEP_1)
	v_fmac_f32_e32 v18, v33, v27
	ds_load_2addr_b32 v[32:33], v17 offset0:128 offset1:160
	ds_load_b128 v[24:27], v11 offset:4208
	s_wait_dscnt 0x3
	v_fmac_f32_e32 v18, v28, v20
	v_fmac_f32_e32 v18, v29, v21
	ds_load_2addr_b32 v[20:21], v17 offset0:192 offset1:224
	s_wait_dscnt 0x0
	s_barrier_signal -1
	s_barrier_wait -1
	v_fmac_f32_e32 v18, v30, v22
	s_delay_alu instid0(VALU_DEP_1) | instskip(NEXT) | instid1(VALU_DEP_1)
	v_fmac_f32_e32 v18, v31, v23
	v_fmac_f32_e32 v18, v32, v24
	s_delay_alu instid0(VALU_DEP_1) | instskip(NEXT) | instid1(VALU_DEP_1)
	v_fmac_f32_e32 v18, v33, v25
	v_fmac_f32_e32 v18, v20, v26
	s_delay_alu instid0(VALU_DEP_1)
	v_fmac_f32_e32 v18, v21, v27
	s_cbranch_scc1 .LBB0_12
.LBB0_16:                               ;   Parent Loop BB0_10 Depth=1
                                        ;     Parent Loop BB0_13 Depth=2
                                        ; =>    This Inner Loop Header: Depth=3
	s_and_b32 vcc_lo, exec_lo, s24
	s_wait_xcnt 0x0
	s_mov_b32 s28, -1
                                        ; implicit-def: $vgpr20
	s_cbranch_vccnz .LBB0_25
; %bb.17:                               ;   in Loop: Header=BB0_16 Depth=3
	s_and_not1_b32 vcc_lo, exec_lo, s28
	s_cbranch_vccz .LBB0_30
.LBB0_18:                               ;   in Loop: Header=BB0_16 Depth=3
	s_and_b32 vcc_lo, exec_lo, s15
	s_wait_loadcnt 0x0
	ds_store_b32 v15, v20
	s_cbranch_vccz .LBB0_35
.LBB0_19:                               ;   in Loop: Header=BB0_16 Depth=3
	s_mov_b32 s29, 0
	s_mov_b32 s28, 0
                                        ; implicit-def: $vgpr20
	s_and_saveexec_b32 s30, s1
	s_cbranch_execz .LBB0_23
; %bb.20:                               ;   in Loop: Header=BB0_16 Depth=3
	v_add_nc_u32_e32 v21, s27, v8
	s_mov_b32 s31, exec_lo
                                        ; implicit-def: $vgpr20
	s_delay_alu instid0(VALU_DEP_1)
	v_cmpx_gt_i32_e64 s23, v21
	s_xor_b32 s31, exec_lo, s31
; %bb.21:                               ;   in Loop: Header=BB0_16 Depth=3
	v_add_nc_u32_e32 v20, s13, v21
	s_mov_b32 s28, exec_lo
	s_delay_alu instid0(VALU_DEP_1)
	v_mad_u32 v20, v20, s22, v6
; %bb.22:                               ;   in Loop: Header=BB0_16 Depth=3
	s_or_b32 exec_lo, exec_lo, s31
	s_delay_alu instid0(SALU_CYCLE_1)
	s_and_b32 s28, s28, exec_lo
.LBB0_23:                               ;   in Loop: Header=BB0_16 Depth=3
	s_or_b32 exec_lo, exec_lo, s30
	s_delay_alu instid0(SALU_CYCLE_1)
	s_and_b32 vcc_lo, exec_lo, s29
	s_cbranch_vccnz .LBB0_36
.LBB0_24:                               ;   in Loop: Header=BB0_16 Depth=3
	v_mov_b32_e32 v21, 0
	s_and_saveexec_b32 s29, s28
	s_cbranch_execz .LBB0_15
	s_branch .LBB0_41
.LBB0_25:                               ;   in Loop: Header=BB0_16 Depth=3
	v_mov_b32_e32 v20, 0
	s_and_saveexec_b32 s28, s0
	s_cbranch_execz .LBB0_29
; %bb.26:                               ;   in Loop: Header=BB0_16 Depth=3
	v_add_nc_u32_e32 v20, s27, v9
	s_delay_alu instid0(VALU_DEP_1)
	v_cmp_gt_i32_e32 vcc_lo, s23, v20
	v_mov_b32_e32 v20, 0
	s_and_saveexec_b32 s29, vcc_lo
	s_cbranch_execz .LBB0_28
; %bb.27:                               ;   in Loop: Header=BB0_16 Depth=3
	v_add_nc_u32_e32 v20, s27, v19
	s_delay_alu instid0(VALU_DEP_1) | instskip(NEXT) | instid1(VALU_DEP_1)
	v_ashrrev_i32_e32 v21, 31, v20
	v_mul_u64_e32 v[20:21], s[4:5], v[20:21]
	s_delay_alu instid0(VALU_DEP_1)
	v_lshl_add_u64 v[20:21], v[20:21], 2, v[0:1]
	global_load_b32 v20, v[20:21], off
.LBB0_28:                               ;   in Loop: Header=BB0_16 Depth=3
	s_wait_xcnt 0x0
	s_or_b32 exec_lo, exec_lo, s29
.LBB0_29:                               ;   in Loop: Header=BB0_16 Depth=3
	s_delay_alu instid0(SALU_CYCLE_1)
	s_or_b32 exec_lo, exec_lo, s28
	s_cbranch_execnz .LBB0_18
.LBB0_30:                               ;   in Loop: Header=BB0_16 Depth=3
	s_wait_loadcnt 0x0
	v_mov_b32_e32 v20, 0
	s_and_saveexec_b32 s28, s0
	s_cbranch_execz .LBB0_34
; %bb.31:                               ;   in Loop: Header=BB0_16 Depth=3
	v_add_nc_u32_e32 v20, s27, v9
	s_delay_alu instid0(VALU_DEP_1)
	v_cmp_gt_i32_e32 vcc_lo, s23, v20
	v_mov_b32_e32 v20, 0
	s_and_saveexec_b32 s29, vcc_lo
	s_cbranch_execz .LBB0_33
; %bb.32:                               ;   in Loop: Header=BB0_16 Depth=3
	v_add_nc_u32_e32 v20, s27, v19
	s_delay_alu instid0(VALU_DEP_1) | instskip(NEXT) | instid1(VALU_DEP_1)
	v_ashrrev_i32_e32 v21, 31, v20
	v_lshl_add_u64 v[20:21], v[20:21], 2, v[2:3]
	global_load_b32 v20, v[20:21], off
.LBB0_33:                               ;   in Loop: Header=BB0_16 Depth=3
	s_wait_xcnt 0x0
	s_or_b32 exec_lo, exec_lo, s29
.LBB0_34:                               ;   in Loop: Header=BB0_16 Depth=3
	s_delay_alu instid0(SALU_CYCLE_1) | instskip(NEXT) | instid1(SALU_CYCLE_1)
	s_or_b32 exec_lo, exec_lo, s28
	s_and_b32 vcc_lo, exec_lo, s15
	s_wait_loadcnt 0x0
	ds_store_b32 v15, v20
	s_cbranch_vccnz .LBB0_19
.LBB0_35:                               ;   in Loop: Header=BB0_16 Depth=3
	s_mov_b32 s28, 0
                                        ; implicit-def: $vgpr20
	s_cbranch_execz .LBB0_24
.LBB0_36:                               ;   in Loop: Header=BB0_16 Depth=3
                                        ; implicit-def: $vgpr20
	s_and_saveexec_b32 s29, s1
	s_cbranch_execz .LBB0_40
; %bb.37:                               ;   in Loop: Header=BB0_16 Depth=3
	v_add_nc_u32_e32 v20, s27, v8
	s_mov_b32 s30, s28
	s_delay_alu instid0(VALU_DEP_1)
	v_cmp_gt_i32_e32 vcc_lo, s23, v20
                                        ; implicit-def: $vgpr20
	s_and_saveexec_b32 s31, vcc_lo
; %bb.38:                               ;   in Loop: Header=BB0_16 Depth=3
	v_add_nc_u32_e32 v20, s27, v7
	s_or_b32 s30, s28, exec_lo
; %bb.39:                               ;   in Loop: Header=BB0_16 Depth=3
	s_or_b32 exec_lo, exec_lo, s31
	s_delay_alu instid0(SALU_CYCLE_1) | instskip(SKIP_1) | instid1(SALU_CYCLE_1)
	s_and_not1_b32 s28, s28, exec_lo
	s_and_b32 s30, s30, exec_lo
	s_or_b32 s28, s28, s30
.LBB0_40:                               ;   in Loop: Header=BB0_16 Depth=3
	s_or_b32 exec_lo, exec_lo, s29
	v_mov_b32_e32 v21, 0
	s_and_saveexec_b32 s29, s28
	s_cbranch_execz .LBB0_15
.LBB0_41:                               ;   in Loop: Header=BB0_16 Depth=3
	global_load_b32 v21, v20, s[10:11] scale_offset
	s_branch .LBB0_15
.LBB0_42:                               ;   in Loop: Header=BB0_10 Depth=1
	v_cmp_gt_i32_e32 vcc_lo, s22, v6
	s_and_b32 s12, s25, vcc_lo
	s_delay_alu instid0(SALU_CYCLE_1)
	s_and_saveexec_b32 s1, s12
	s_cbranch_execz .LBB0_9
; %bb.43:                               ;   in Loop: Header=BB0_10 Depth=1
	v_add_nc_u32_e32 v6, s18, v6
	v_mul_f32_e32 v18, s20, v18
	s_and_b32 vcc_lo, exec_lo, s16
	s_delay_alu instid0(VALU_DEP_2)
	v_ashrrev_i32_e32 v7, 31, v6
	s_cbranch_vccz .LBB0_45
; %bb.44:                               ;   in Loop: Header=BB0_10 Depth=1
	s_delay_alu instid0(VALU_DEP_1)
	v_lshl_add_u64 v[20:21], v[6:7], 2, v[4:5]
	global_load_b32 v19, v[20:21], off
	s_wait_loadcnt 0x0
	v_fma_f32 v19, s6, v19, v18
	global_store_b32 v[20:21], v19, off
	s_cbranch_execnz .LBB0_9
	s_branch .LBB0_46
.LBB0_45:                               ;   in Loop: Header=BB0_10 Depth=1
.LBB0_46:                               ;   in Loop: Header=BB0_10 Depth=1
	s_delay_alu instid0(VALU_DEP_1)
	v_lshl_add_u64 v[6:7], v[6:7], 2, v[4:5]
	global_store_b32 v[6:7], v18, off
	s_branch .LBB0_9
.LBB0_47:
	s_endpgm
	.section	.rodata,"a",@progbits
	.p2align	6, 0x0
	.amdhsa_kernel _ZN9rocsparseL31gebsrmm_general_blockdim_kernelILi32ELi32EfEEv20rocsparse_direction_20rocsparse_operation_iiNS_24const_host_device_scalarIT1_EEPKiS7_PKS4_iiS9_lS5_PS4_l21rocsparse_index_base_b
		.amdhsa_group_segment_fixed_size 8192
		.amdhsa_private_segment_fixed_size 0
		.amdhsa_kernarg_size 104
		.amdhsa_user_sgpr_count 2
		.amdhsa_user_sgpr_dispatch_ptr 0
		.amdhsa_user_sgpr_queue_ptr 0
		.amdhsa_user_sgpr_kernarg_segment_ptr 1
		.amdhsa_user_sgpr_dispatch_id 0
		.amdhsa_user_sgpr_kernarg_preload_length 0
		.amdhsa_user_sgpr_kernarg_preload_offset 0
		.amdhsa_user_sgpr_private_segment_size 0
		.amdhsa_wavefront_size32 1
		.amdhsa_uses_dynamic_stack 0
		.amdhsa_enable_private_segment 0
		.amdhsa_system_sgpr_workgroup_id_x 1
		.amdhsa_system_sgpr_workgroup_id_y 1
		.amdhsa_system_sgpr_workgroup_id_z 0
		.amdhsa_system_sgpr_workgroup_info 0
		.amdhsa_system_vgpr_workitem_id 1
		.amdhsa_next_free_vgpr 34
		.amdhsa_next_free_sgpr 32
		.amdhsa_named_barrier_count 0
		.amdhsa_reserve_vcc 1
		.amdhsa_float_round_mode_32 0
		.amdhsa_float_round_mode_16_64 0
		.amdhsa_float_denorm_mode_32 3
		.amdhsa_float_denorm_mode_16_64 3
		.amdhsa_fp16_overflow 0
		.amdhsa_memory_ordered 1
		.amdhsa_forward_progress 1
		.amdhsa_inst_pref_size 14
		.amdhsa_round_robin_scheduling 0
		.amdhsa_exception_fp_ieee_invalid_op 0
		.amdhsa_exception_fp_denorm_src 0
		.amdhsa_exception_fp_ieee_div_zero 0
		.amdhsa_exception_fp_ieee_overflow 0
		.amdhsa_exception_fp_ieee_underflow 0
		.amdhsa_exception_fp_ieee_inexact 0
		.amdhsa_exception_int_div_zero 0
	.end_amdhsa_kernel
	.section	.text._ZN9rocsparseL31gebsrmm_general_blockdim_kernelILi32ELi32EfEEv20rocsparse_direction_20rocsparse_operation_iiNS_24const_host_device_scalarIT1_EEPKiS7_PKS4_iiS9_lS5_PS4_l21rocsparse_index_base_b,"axG",@progbits,_ZN9rocsparseL31gebsrmm_general_blockdim_kernelILi32ELi32EfEEv20rocsparse_direction_20rocsparse_operation_iiNS_24const_host_device_scalarIT1_EEPKiS7_PKS4_iiS9_lS5_PS4_l21rocsparse_index_base_b,comdat
.Lfunc_end0:
	.size	_ZN9rocsparseL31gebsrmm_general_blockdim_kernelILi32ELi32EfEEv20rocsparse_direction_20rocsparse_operation_iiNS_24const_host_device_scalarIT1_EEPKiS7_PKS4_iiS9_lS5_PS4_l21rocsparse_index_base_b, .Lfunc_end0-_ZN9rocsparseL31gebsrmm_general_blockdim_kernelILi32ELi32EfEEv20rocsparse_direction_20rocsparse_operation_iiNS_24const_host_device_scalarIT1_EEPKiS7_PKS4_iiS9_lS5_PS4_l21rocsparse_index_base_b
                                        ; -- End function
	.set _ZN9rocsparseL31gebsrmm_general_blockdim_kernelILi32ELi32EfEEv20rocsparse_direction_20rocsparse_operation_iiNS_24const_host_device_scalarIT1_EEPKiS7_PKS4_iiS9_lS5_PS4_l21rocsparse_index_base_b.num_vgpr, 34
	.set _ZN9rocsparseL31gebsrmm_general_blockdim_kernelILi32ELi32EfEEv20rocsparse_direction_20rocsparse_operation_iiNS_24const_host_device_scalarIT1_EEPKiS7_PKS4_iiS9_lS5_PS4_l21rocsparse_index_base_b.num_agpr, 0
	.set _ZN9rocsparseL31gebsrmm_general_blockdim_kernelILi32ELi32EfEEv20rocsparse_direction_20rocsparse_operation_iiNS_24const_host_device_scalarIT1_EEPKiS7_PKS4_iiS9_lS5_PS4_l21rocsparse_index_base_b.numbered_sgpr, 32
	.set _ZN9rocsparseL31gebsrmm_general_blockdim_kernelILi32ELi32EfEEv20rocsparse_direction_20rocsparse_operation_iiNS_24const_host_device_scalarIT1_EEPKiS7_PKS4_iiS9_lS5_PS4_l21rocsparse_index_base_b.num_named_barrier, 0
	.set _ZN9rocsparseL31gebsrmm_general_blockdim_kernelILi32ELi32EfEEv20rocsparse_direction_20rocsparse_operation_iiNS_24const_host_device_scalarIT1_EEPKiS7_PKS4_iiS9_lS5_PS4_l21rocsparse_index_base_b.private_seg_size, 0
	.set _ZN9rocsparseL31gebsrmm_general_blockdim_kernelILi32ELi32EfEEv20rocsparse_direction_20rocsparse_operation_iiNS_24const_host_device_scalarIT1_EEPKiS7_PKS4_iiS9_lS5_PS4_l21rocsparse_index_base_b.uses_vcc, 1
	.set _ZN9rocsparseL31gebsrmm_general_blockdim_kernelILi32ELi32EfEEv20rocsparse_direction_20rocsparse_operation_iiNS_24const_host_device_scalarIT1_EEPKiS7_PKS4_iiS9_lS5_PS4_l21rocsparse_index_base_b.uses_flat_scratch, 0
	.set _ZN9rocsparseL31gebsrmm_general_blockdim_kernelILi32ELi32EfEEv20rocsparse_direction_20rocsparse_operation_iiNS_24const_host_device_scalarIT1_EEPKiS7_PKS4_iiS9_lS5_PS4_l21rocsparse_index_base_b.has_dyn_sized_stack, 0
	.set _ZN9rocsparseL31gebsrmm_general_blockdim_kernelILi32ELi32EfEEv20rocsparse_direction_20rocsparse_operation_iiNS_24const_host_device_scalarIT1_EEPKiS7_PKS4_iiS9_lS5_PS4_l21rocsparse_index_base_b.has_recursion, 0
	.set _ZN9rocsparseL31gebsrmm_general_blockdim_kernelILi32ELi32EfEEv20rocsparse_direction_20rocsparse_operation_iiNS_24const_host_device_scalarIT1_EEPKiS7_PKS4_iiS9_lS5_PS4_l21rocsparse_index_base_b.has_indirect_call, 0
	.section	.AMDGPU.csdata,"",@progbits
; Kernel info:
; codeLenInByte = 1752
; TotalNumSgprs: 34
; NumVgprs: 34
; ScratchSize: 0
; MemoryBound: 0
; FloatMode: 240
; IeeeMode: 1
; LDSByteSize: 8192 bytes/workgroup (compile time only)
; SGPRBlocks: 0
; VGPRBlocks: 2
; NumSGPRsForWavesPerEU: 34
; NumVGPRsForWavesPerEU: 34
; NamedBarCnt: 0
; Occupancy: 16
; WaveLimiterHint : 1
; COMPUTE_PGM_RSRC2:SCRATCH_EN: 0
; COMPUTE_PGM_RSRC2:USER_SGPR: 2
; COMPUTE_PGM_RSRC2:TRAP_HANDLER: 0
; COMPUTE_PGM_RSRC2:TGID_X_EN: 1
; COMPUTE_PGM_RSRC2:TGID_Y_EN: 1
; COMPUTE_PGM_RSRC2:TGID_Z_EN: 0
; COMPUTE_PGM_RSRC2:TIDIG_COMP_CNT: 1
	.section	.text._ZN9rocsparseL31gebsrmm_general_blockdim_kernelILi32ELi32EdEEv20rocsparse_direction_20rocsparse_operation_iiNS_24const_host_device_scalarIT1_EEPKiS7_PKS4_iiS9_lS5_PS4_l21rocsparse_index_base_b,"axG",@progbits,_ZN9rocsparseL31gebsrmm_general_blockdim_kernelILi32ELi32EdEEv20rocsparse_direction_20rocsparse_operation_iiNS_24const_host_device_scalarIT1_EEPKiS7_PKS4_iiS9_lS5_PS4_l21rocsparse_index_base_b,comdat
	.globl	_ZN9rocsparseL31gebsrmm_general_blockdim_kernelILi32ELi32EdEEv20rocsparse_direction_20rocsparse_operation_iiNS_24const_host_device_scalarIT1_EEPKiS7_PKS4_iiS9_lS5_PS4_l21rocsparse_index_base_b ; -- Begin function _ZN9rocsparseL31gebsrmm_general_blockdim_kernelILi32ELi32EdEEv20rocsparse_direction_20rocsparse_operation_iiNS_24const_host_device_scalarIT1_EEPKiS7_PKS4_iiS9_lS5_PS4_l21rocsparse_index_base_b
	.p2align	8
	.type	_ZN9rocsparseL31gebsrmm_general_blockdim_kernelILi32ELi32EdEEv20rocsparse_direction_20rocsparse_operation_iiNS_24const_host_device_scalarIT1_EEPKiS7_PKS4_iiS9_lS5_PS4_l21rocsparse_index_base_b,@function
_ZN9rocsparseL31gebsrmm_general_blockdim_kernelILi32ELi32EdEEv20rocsparse_direction_20rocsparse_operation_iiNS_24const_host_device_scalarIT1_EEPKiS7_PKS4_iiS9_lS5_PS4_l21rocsparse_index_base_b: ; @_ZN9rocsparseL31gebsrmm_general_blockdim_kernelILi32ELi32EdEEv20rocsparse_direction_20rocsparse_operation_iiNS_24const_host_device_scalarIT1_EEPKiS7_PKS4_iiS9_lS5_PS4_l21rocsparse_index_base_b
; %bb.0:
	s_clause 0x2
	s_load_b64 s[20:21], s[0:1], 0x60
	s_load_b64 s[2:3], s[0:1], 0x10
	s_load_b128 s[4:7], s[0:1], 0x40
	s_wait_kmcnt 0x0
	s_bitcmp1_b32 s21, 0
	v_mov_b64_e32 v[2:3], s[2:3]
	s_cselect_b32 s8, -1, 0
	s_delay_alu instid0(SALU_CYCLE_1)
	s_and_b32 vcc_lo, exec_lo, s8
	s_xor_b32 s8, s8, -1
	s_cbranch_vccnz .LBB1_2
; %bb.1:
	v_mov_b32_e32 v1, 0
	flat_load_b64 v[2:3], v1, s[2:3]
.LBB1_2:
	v_mov_b64_e32 v[4:5], s[6:7]
	s_and_not1_b32 vcc_lo, exec_lo, s8
	s_cbranch_vccnz .LBB1_4
; %bb.3:
	s_wait_xcnt 0x0
	v_mov_b32_e32 v1, 0
	flat_load_b64 v[4:5], v1, s[6:7]
.LBB1_4:
	s_wait_loadcnt_dscnt 0x0
	v_cmp_neq_f64_e32 vcc_lo, 0, v[2:3]
	s_delay_alu instid0(VALU_DEP_2) | instskip(SKIP_1) | instid1(SALU_CYCLE_1)
	v_cmp_neq_f64_e64 s2, 1.0, v[4:5]
	s_or_b32 s2, vcc_lo, s2
	s_and_saveexec_b32 s3, s2
	s_cbranch_execz .LBB1_47
; %bb.5:
	s_load_b128 s[12:15], s[0:1], 0x0
	s_bfe_u32 s2, ttmp6, 0x4000c
	s_and_b32 s3, ttmp6, 15
	s_add_co_i32 s2, s2, 1
	s_delay_alu instid0(SALU_CYCLE_1)
	s_mul_i32 s6, ttmp9, s2
	s_getreg_b32 s2, hwreg(HW_REG_IB_STS2, 6, 4)
	s_add_co_i32 s3, s3, s6
	s_cmp_eq_u32 s2, 0
	s_cselect_b32 s22, ttmp9, s3
	s_mov_b32 s3, 0
	s_wait_kmcnt 0x0
	s_cmp_lt_i32 s22, s14
	s_cselect_b32 s24, -1, 0
	s_cmp_ge_i32 s22, s14
	s_mov_b32 s14, 0
	s_cbranch_scc1 .LBB1_7
; %bb.6:
	s_load_b64 s[6:7], s[0:1], 0x18
	s_ashr_i32 s23, s22, 31
	s_delay_alu instid0(SALU_CYCLE_1)
	s_lshl_b64 s[8:9], s[22:23], 2
	s_wait_kmcnt 0x0
	s_add_nc_u64 s[6:7], s[6:7], s[8:9]
	s_load_b64 s[8:9], s[6:7], 0x0
	s_wait_kmcnt 0x0
	s_sub_co_i32 s3, s8, s20
	s_sub_co_i32 s14, s9, s20
.LBB1_7:
	s_load_b64 s[6:7], s[0:1], 0x30
	s_wait_kmcnt 0x0
	s_cmp_lt_i32 s6, 1
	s_cbranch_scc1 .LBB1_47
; %bb.8:
	s_bfe_u32 s8, ttmp6, 0x40010
	s_load_b128 s[16:19], s[0:1], 0x50
	s_add_co_i32 s8, s8, 1
	s_bfe_u32 s9, ttmp6, 0x40004
	s_mul_i32 s8, ttmp7, s8
	v_bfe_u32 v14, v0, 10, 10
	s_add_co_i32 s9, s9, s8
	s_cmp_eq_u32 s2, 0
	v_and_b32_e32 v15, 0x3ff, v0
	s_cselect_b32 s2, ttmp7, s9
	s_clause 0x1
	s_load_b128 s[8:11], s[0:1], 0x20
	s_load_b64 s[26:27], s[0:1], 0x38
	v_lshl_add_u32 v6, s2, 5, v14
	v_cmp_neq_f64_e64 s2, 0, v[4:5]
	v_mad_u32 v0, s3, s6, v15
	v_lshlrev_b32_e32 v17, 8, v14
	s_cmp_lt_i32 s3, s14
	v_dual_ashrrev_i32 v7, 31, v6 :: v_dual_lshlrev_b32 v16, 3, v15
	s_cselect_b32 s21, -1, 0
	s_cmp_gt_i32 s7, 0
	s_wait_xcnt 0x0
	v_cmp_gt_i32_e64 s0, s15, v6
	v_mul_u64_e32 v[8:9], s[4:5], v[6:7]
	s_wait_kmcnt 0x0
	v_mul_u64_e32 v[10:11], s[18:19], v[6:7]
	v_or_b32_e32 v1, 0x2000, v16
	v_mad_u32 v22, s7, v0, v14
	s_mul_i32 s19, s6, s22
	s_cselect_b32 s22, -1, 0
	s_cmp_lg_u32 s13, 0x6f
	v_dual_add_nc_u32 v18, v16, v17 :: v_dual_add_nc_u32 v21, v1, v17
	v_add_nc_u32_e32 v19, 0x800, v16
	v_add_nc_u32_e32 v20, 0x1000, v16
	v_lshl_add_u64 v[0:1], v[6:7], 3, s[26:27]
	v_add_nc_u32_e32 v23, 0x1800, v16
	s_cselect_b32 s23, -1, 0
	s_cmp_lg_u32 s12, 0
	s_mov_b32 s18, 0
	s_cselect_b32 s15, -1, 0
	v_lshl_add_u64 v[6:7], v[8:9], 3, s[26:27]
	v_lshl_add_u64 v[8:9], v[10:11], 3, s[16:17]
	s_and_b32 s16, s24, s0
	s_lshl_b32 s17, s7, 5
	s_mul_i32 s24, s7, s6
	s_branch .LBB1_10
.LBB1_9:                                ;   in Loop: Header=BB1_10 Depth=1
	s_wait_xcnt 0x0
	s_or_b32 exec_lo, exec_lo, s1
	v_add_nc_u32_e32 v22, s17, v22
	s_add_co_i32 s18, s18, 32
	s_delay_alu instid0(SALU_CYCLE_1)
	s_cmp_lt_i32 s18, s6
	s_cbranch_scc0 .LBB1_47
.LBB1_10:                               ; =>This Loop Header: Depth=1
                                        ;     Child Loop BB1_13 Depth 2
                                        ;       Child Loop BB1_16 Depth 3
	v_add_nc_u32_e32 v24, s18, v15
	v_mov_b64_e32 v[10:11], 0
	s_and_not1_b32 vcc_lo, exec_lo, s21
	s_delay_alu instid0(VALU_DEP_2)
	v_cmp_gt_i32_e64 s1, s6, v24
	s_cbranch_vccnz .LBB1_42
; %bb.11:                               ;   in Loop: Header=BB1_10 Depth=1
	v_mov_b64_e32 v[10:11], 0
	v_mov_b32_e32 v25, v22
	s_mov_b32 s12, s3
	s_branch .LBB1_13
.LBB1_12:                               ;   in Loop: Header=BB1_13 Depth=2
	v_add_nc_u32_e32 v25, s24, v25
	s_add_co_i32 s12, s12, 1
	s_delay_alu instid0(SALU_CYCLE_1)
	s_cmp_ge_i32 s12, s14
	s_cbranch_scc1 .LBB1_42
.LBB1_13:                               ;   Parent Loop BB1_10 Depth=1
                                        ; =>  This Loop Header: Depth=2
                                        ;       Child Loop BB1_16 Depth 3
	s_and_not1_b32 vcc_lo, exec_lo, s22
	s_cbranch_vccnz .LBB1_12
; %bb.14:                               ;   in Loop: Header=BB1_13 Depth=2
	s_ashr_i32 s13, s12, 31
	s_mov_b32 s25, 0
	s_lshl_b64 s[26:27], s[12:13], 2
	s_delay_alu instid0(SALU_CYCLE_1) | instskip(SKIP_3) | instid1(SALU_CYCLE_1)
	s_add_nc_u64 s[26:27], s[8:9], s[26:27]
	s_load_b32 s13, s[26:27], 0x0
	s_wait_kmcnt 0x0
	s_sub_co_i32 s13, s13, s20
	v_mad_u32 v26, s13, s7, v15
	s_mul_i32 s13, s12, s7
	s_branch .LBB1_16
.LBB1_15:                               ;   in Loop: Header=BB1_16 Depth=3
	s_wait_xcnt 0x0
	s_or_b32 exec_lo, exec_lo, s27
	s_wait_loadcnt 0x0
	ds_store_b64 v18, v[12:13]
	s_wait_dscnt 0x0
	s_barrier_signal -1
	s_barrier_wait -1
	ds_load_2addr_b64 v[28:31], v16 offset1:32
	ds_load_b128 v[32:35], v17 offset:8192
	ds_load_b128 v[36:39], v17 offset:8208
	s_add_co_i32 s25, s25, 32
	s_delay_alu instid0(SALU_CYCLE_1) | instskip(SKIP_2) | instid1(VALU_DEP_1)
	s_cmp_ge_i32 s25, s7
	s_wait_dscnt 0x1
	v_fmac_f64_e32 v[10:11], v[28:29], v[32:33]
	v_fmac_f64_e32 v[10:11], v[30:31], v[34:35]
	ds_load_2addr_b64 v[28:31], v16 offset0:64 offset1:96
	s_wait_dscnt 0x0
	v_fmac_f64_e32 v[10:11], v[28:29], v[36:37]
	s_delay_alu instid0(VALU_DEP_1)
	v_fmac_f64_e32 v[10:11], v[30:31], v[38:39]
	ds_load_2addr_b64 v[28:31], v16 offset0:128 offset1:160
	ds_load_b128 v[32:35], v17 offset:8224
	ds_load_b128 v[36:39], v17 offset:8240
	s_wait_dscnt 0x1
	v_fmac_f64_e32 v[10:11], v[28:29], v[32:33]
	s_delay_alu instid0(VALU_DEP_1) | instskip(SKIP_3) | instid1(VALU_DEP_1)
	v_fmac_f64_e32 v[10:11], v[30:31], v[34:35]
	ds_load_2addr_b64 v[28:31], v16 offset0:192 offset1:224
	s_wait_dscnt 0x0
	v_fmac_f64_e32 v[10:11], v[28:29], v[36:37]
	v_fmac_f64_e32 v[10:11], v[30:31], v[38:39]
	ds_load_2addr_b64 v[28:31], v19 offset1:32
	ds_load_b128 v[32:35], v17 offset:8256
	ds_load_b128 v[36:39], v17 offset:8272
	s_wait_dscnt 0x1
	v_fmac_f64_e32 v[10:11], v[28:29], v[32:33]
	s_delay_alu instid0(VALU_DEP_1) | instskip(SKIP_3) | instid1(VALU_DEP_1)
	v_fmac_f64_e32 v[10:11], v[30:31], v[34:35]
	ds_load_2addr_b64 v[28:31], v19 offset0:64 offset1:96
	s_wait_dscnt 0x0
	v_fmac_f64_e32 v[10:11], v[28:29], v[36:37]
	v_fmac_f64_e32 v[10:11], v[30:31], v[38:39]
	ds_load_2addr_b64 v[28:31], v19 offset0:128 offset1:160
	ds_load_b128 v[32:35], v17 offset:8288
	ds_load_b128 v[36:39], v17 offset:8304
	s_wait_dscnt 0x1
	v_fmac_f64_e32 v[10:11], v[28:29], v[32:33]
	s_delay_alu instid0(VALU_DEP_1) | instskip(SKIP_3) | instid1(VALU_DEP_1)
	v_fmac_f64_e32 v[10:11], v[30:31], v[34:35]
	ds_load_2addr_b64 v[28:31], v19 offset0:192 offset1:224
	s_wait_dscnt 0x0
	v_fmac_f64_e32 v[10:11], v[28:29], v[36:37]
	v_fmac_f64_e32 v[10:11], v[30:31], v[38:39]
	ds_load_2addr_b64 v[28:31], v20 offset1:32
	ds_load_b128 v[32:35], v17 offset:8320
	ds_load_b128 v[36:39], v17 offset:8336
	s_wait_dscnt 0x1
	v_fmac_f64_e32 v[10:11], v[28:29], v[32:33]
	s_delay_alu instid0(VALU_DEP_1) | instskip(SKIP_3) | instid1(VALU_DEP_1)
	v_fmac_f64_e32 v[10:11], v[30:31], v[34:35]
	ds_load_2addr_b64 v[28:31], v20 offset0:64 offset1:96
	s_wait_dscnt 0x0
	v_fmac_f64_e32 v[10:11], v[28:29], v[36:37]
	;; [unrolled: 22-line block ×3, first 2 shown]
	v_fmac_f64_e32 v[10:11], v[30:31], v[38:39]
	ds_load_2addr_b64 v[28:31], v23 offset0:128 offset1:160
	ds_load_b128 v[32:35], v17 offset:8416
	ds_load_b128 v[36:39], v17 offset:8432
	s_wait_dscnt 0x1
	v_fmac_f64_e32 v[10:11], v[28:29], v[32:33]
	s_delay_alu instid0(VALU_DEP_1)
	v_fmac_f64_e32 v[10:11], v[30:31], v[34:35]
	ds_load_2addr_b64 v[28:31], v23 offset0:192 offset1:224
	s_wait_dscnt 0x0
	s_barrier_signal -1
	s_barrier_wait -1
	v_fmac_f64_e32 v[10:11], v[28:29], v[36:37]
	s_delay_alu instid0(VALU_DEP_1)
	v_fmac_f64_e32 v[10:11], v[30:31], v[38:39]
	s_cbranch_scc1 .LBB1_12
.LBB1_16:                               ;   Parent Loop BB1_10 Depth=1
                                        ;     Parent Loop BB1_13 Depth=2
                                        ; =>    This Inner Loop Header: Depth=3
	s_and_b32 vcc_lo, exec_lo, s23
	s_wait_xcnt 0x0
	s_mov_b32 s26, -1
                                        ; implicit-def: $vgpr12_vgpr13
	s_cbranch_vccnz .LBB1_25
; %bb.17:                               ;   in Loop: Header=BB1_16 Depth=3
	s_and_not1_b32 vcc_lo, exec_lo, s26
	s_cbranch_vccz .LBB1_30
.LBB1_18:                               ;   in Loop: Header=BB1_16 Depth=3
	s_and_b32 vcc_lo, exec_lo, s15
	s_wait_loadcnt 0x0
	ds_store_b64 v21, v[12:13]
	s_cbranch_vccz .LBB1_35
.LBB1_19:                               ;   in Loop: Header=BB1_16 Depth=3
	s_mov_b32 s27, 0
	s_mov_b32 s26, 0
                                        ; implicit-def: $vgpr27
	s_and_saveexec_b32 s28, s1
	s_cbranch_execz .LBB1_23
; %bb.20:                               ;   in Loop: Header=BB1_16 Depth=3
	v_add_nc_u32_e32 v12, s25, v14
	s_mov_b32 s29, exec_lo
                                        ; implicit-def: $vgpr27
	s_delay_alu instid0(VALU_DEP_1)
	v_cmpx_gt_i32_e64 s7, v12
	s_xor_b32 s29, exec_lo, s29
; %bb.21:                               ;   in Loop: Header=BB1_16 Depth=3
	v_add_nc_u32_e32 v12, s13, v12
	s_mov_b32 s26, exec_lo
	s_delay_alu instid0(VALU_DEP_1)
	v_mad_u32 v27, v12, s6, v24
; %bb.22:                               ;   in Loop: Header=BB1_16 Depth=3
	s_or_b32 exec_lo, exec_lo, s29
	s_delay_alu instid0(SALU_CYCLE_1)
	s_and_b32 s26, s26, exec_lo
.LBB1_23:                               ;   in Loop: Header=BB1_16 Depth=3
	s_or_b32 exec_lo, exec_lo, s28
	s_delay_alu instid0(SALU_CYCLE_1)
	s_and_b32 vcc_lo, exec_lo, s27
	s_cbranch_vccnz .LBB1_36
.LBB1_24:                               ;   in Loop: Header=BB1_16 Depth=3
	v_mov_b64_e32 v[12:13], 0
	s_and_saveexec_b32 s27, s26
	s_cbranch_execz .LBB1_15
	s_branch .LBB1_41
.LBB1_25:                               ;   in Loop: Header=BB1_16 Depth=3
	v_mov_b64_e32 v[12:13], 0
	s_and_saveexec_b32 s26, s0
	s_cbranch_execz .LBB1_29
; %bb.26:                               ;   in Loop: Header=BB1_16 Depth=3
	v_mov_b64_e32 v[12:13], 0
	v_add_nc_u32_e32 v27, s25, v15
	s_mov_b32 s27, exec_lo
	s_delay_alu instid0(VALU_DEP_1)
	v_cmpx_gt_i32_e64 s7, v27
	s_cbranch_execz .LBB1_28
; %bb.27:                               ;   in Loop: Header=BB1_16 Depth=3
	v_add_nc_u32_e32 v12, s25, v26
	s_delay_alu instid0(VALU_DEP_1) | instskip(NEXT) | instid1(VALU_DEP_1)
	v_ashrrev_i32_e32 v13, 31, v12
	v_mul_u64_e32 v[12:13], s[4:5], v[12:13]
	s_delay_alu instid0(VALU_DEP_1)
	v_lshl_add_u64 v[12:13], v[12:13], 3, v[0:1]
	global_load_b64 v[12:13], v[12:13], off
.LBB1_28:                               ;   in Loop: Header=BB1_16 Depth=3
	s_wait_xcnt 0x0
	s_or_b32 exec_lo, exec_lo, s27
.LBB1_29:                               ;   in Loop: Header=BB1_16 Depth=3
	s_delay_alu instid0(SALU_CYCLE_1)
	s_or_b32 exec_lo, exec_lo, s26
	s_cbranch_execnz .LBB1_18
.LBB1_30:                               ;   in Loop: Header=BB1_16 Depth=3
	s_wait_loadcnt 0x0
	v_mov_b64_e32 v[12:13], 0
	s_and_saveexec_b32 s26, s0
	s_cbranch_execz .LBB1_34
; %bb.31:                               ;   in Loop: Header=BB1_16 Depth=3
	v_mov_b64_e32 v[12:13], 0
	v_add_nc_u32_e32 v27, s25, v15
	s_mov_b32 s27, exec_lo
	s_delay_alu instid0(VALU_DEP_1)
	v_cmpx_gt_i32_e64 s7, v27
	s_cbranch_execz .LBB1_33
; %bb.32:                               ;   in Loop: Header=BB1_16 Depth=3
	v_add_nc_u32_e32 v12, s25, v26
	s_delay_alu instid0(VALU_DEP_1) | instskip(NEXT) | instid1(VALU_DEP_1)
	v_ashrrev_i32_e32 v13, 31, v12
	v_lshl_add_u64 v[12:13], v[12:13], 3, v[6:7]
	global_load_b64 v[12:13], v[12:13], off
.LBB1_33:                               ;   in Loop: Header=BB1_16 Depth=3
	s_wait_xcnt 0x0
	s_or_b32 exec_lo, exec_lo, s27
.LBB1_34:                               ;   in Loop: Header=BB1_16 Depth=3
	s_delay_alu instid0(SALU_CYCLE_1) | instskip(NEXT) | instid1(SALU_CYCLE_1)
	s_or_b32 exec_lo, exec_lo, s26
	s_and_b32 vcc_lo, exec_lo, s15
	s_wait_loadcnt 0x0
	ds_store_b64 v21, v[12:13]
	s_cbranch_vccnz .LBB1_19
.LBB1_35:                               ;   in Loop: Header=BB1_16 Depth=3
	s_mov_b32 s26, 0
                                        ; implicit-def: $vgpr27
	s_cbranch_execz .LBB1_24
.LBB1_36:                               ;   in Loop: Header=BB1_16 Depth=3
                                        ; implicit-def: $vgpr27
	s_and_saveexec_b32 s27, s1
	s_cbranch_execz .LBB1_40
; %bb.37:                               ;   in Loop: Header=BB1_16 Depth=3
	v_add_nc_u32_e32 v12, s25, v14
	s_mov_b32 s28, s26
	s_mov_b32 s29, exec_lo
                                        ; implicit-def: $vgpr27
	s_delay_alu instid0(VALU_DEP_1)
	v_cmpx_gt_i32_e64 s7, v12
; %bb.38:                               ;   in Loop: Header=BB1_16 Depth=3
	v_add_nc_u32_e32 v27, s25, v25
	s_or_b32 s28, s26, exec_lo
; %bb.39:                               ;   in Loop: Header=BB1_16 Depth=3
	s_or_b32 exec_lo, exec_lo, s29
	s_delay_alu instid0(SALU_CYCLE_1) | instskip(SKIP_1) | instid1(SALU_CYCLE_1)
	s_and_not1_b32 s26, s26, exec_lo
	s_and_b32 s28, s28, exec_lo
	s_or_b32 s26, s26, s28
.LBB1_40:                               ;   in Loop: Header=BB1_16 Depth=3
	s_or_b32 exec_lo, exec_lo, s27
	v_mov_b64_e32 v[12:13], 0
	s_and_saveexec_b32 s27, s26
	s_cbranch_execz .LBB1_15
.LBB1_41:                               ;   in Loop: Header=BB1_16 Depth=3
	global_load_b64 v[12:13], v27, s[10:11] scale_offset
	s_branch .LBB1_15
.LBB1_42:                               ;   in Loop: Header=BB1_10 Depth=1
	v_cmp_gt_i32_e32 vcc_lo, s6, v24
	s_and_b32 s12, s16, vcc_lo
	s_delay_alu instid0(SALU_CYCLE_1)
	s_and_saveexec_b32 s1, s12
	s_cbranch_execz .LBB1_9
; %bb.43:                               ;   in Loop: Header=BB1_10 Depth=1
	v_add_nc_u32_e32 v12, s19, v24
	s_and_saveexec_b32 s12, s2
	s_delay_alu instid0(SALU_CYCLE_1)
	s_xor_b32 s12, exec_lo, s12
	s_cbranch_execz .LBB1_45
; %bb.44:                               ;   in Loop: Header=BB1_10 Depth=1
	s_delay_alu instid0(VALU_DEP_1) | instskip(NEXT) | instid1(VALU_DEP_1)
	v_dual_mul_f64 v[10:11], v[2:3], v[10:11] :: v_dual_ashrrev_i32 v13, 31, v12
	v_lshl_add_u64 v[12:13], v[12:13], 3, v[8:9]
	global_load_b64 v[24:25], v[12:13], off
	s_wait_loadcnt 0x0
	v_fmac_f64_e32 v[10:11], v[4:5], v[24:25]
	global_store_b64 v[12:13], v[10:11], off
                                        ; implicit-def: $vgpr10_vgpr11
                                        ; implicit-def: $vgpr12
.LBB1_45:                               ;   in Loop: Header=BB1_10 Depth=1
	s_wait_xcnt 0x0
	s_and_not1_saveexec_b32 s12, s12
	s_cbranch_execz .LBB1_9
; %bb.46:                               ;   in Loop: Header=BB1_10 Depth=1
	s_delay_alu instid0(VALU_DEP_4) | instskip(NEXT) | instid1(VALU_DEP_1)
	v_dual_mul_f64 v[10:11], v[2:3], v[10:11] :: v_dual_ashrrev_i32 v13, 31, v12
	v_lshl_add_u64 v[12:13], v[12:13], 3, v[8:9]
	global_store_b64 v[12:13], v[10:11], off
	s_branch .LBB1_9
.LBB1_47:
	s_endpgm
	.section	.rodata,"a",@progbits
	.p2align	6, 0x0
	.amdhsa_kernel _ZN9rocsparseL31gebsrmm_general_blockdim_kernelILi32ELi32EdEEv20rocsparse_direction_20rocsparse_operation_iiNS_24const_host_device_scalarIT1_EEPKiS7_PKS4_iiS9_lS5_PS4_l21rocsparse_index_base_b
		.amdhsa_group_segment_fixed_size 16384
		.amdhsa_private_segment_fixed_size 0
		.amdhsa_kernarg_size 104
		.amdhsa_user_sgpr_count 2
		.amdhsa_user_sgpr_dispatch_ptr 0
		.amdhsa_user_sgpr_queue_ptr 0
		.amdhsa_user_sgpr_kernarg_segment_ptr 1
		.amdhsa_user_sgpr_dispatch_id 0
		.amdhsa_user_sgpr_kernarg_preload_length 0
		.amdhsa_user_sgpr_kernarg_preload_offset 0
		.amdhsa_user_sgpr_private_segment_size 0
		.amdhsa_wavefront_size32 1
		.amdhsa_uses_dynamic_stack 0
		.amdhsa_enable_private_segment 0
		.amdhsa_system_sgpr_workgroup_id_x 1
		.amdhsa_system_sgpr_workgroup_id_y 1
		.amdhsa_system_sgpr_workgroup_id_z 0
		.amdhsa_system_sgpr_workgroup_info 0
		.amdhsa_system_vgpr_workitem_id 1
		.amdhsa_next_free_vgpr 40
		.amdhsa_next_free_sgpr 30
		.amdhsa_named_barrier_count 0
		.amdhsa_reserve_vcc 1
		.amdhsa_float_round_mode_32 0
		.amdhsa_float_round_mode_16_64 0
		.amdhsa_float_denorm_mode_32 3
		.amdhsa_float_denorm_mode_16_64 3
		.amdhsa_fp16_overflow 0
		.amdhsa_memory_ordered 1
		.amdhsa_forward_progress 1
		.amdhsa_inst_pref_size 15
		.amdhsa_round_robin_scheduling 0
		.amdhsa_exception_fp_ieee_invalid_op 0
		.amdhsa_exception_fp_denorm_src 0
		.amdhsa_exception_fp_ieee_div_zero 0
		.amdhsa_exception_fp_ieee_overflow 0
		.amdhsa_exception_fp_ieee_underflow 0
		.amdhsa_exception_fp_ieee_inexact 0
		.amdhsa_exception_int_div_zero 0
	.end_amdhsa_kernel
	.section	.text._ZN9rocsparseL31gebsrmm_general_blockdim_kernelILi32ELi32EdEEv20rocsparse_direction_20rocsparse_operation_iiNS_24const_host_device_scalarIT1_EEPKiS7_PKS4_iiS9_lS5_PS4_l21rocsparse_index_base_b,"axG",@progbits,_ZN9rocsparseL31gebsrmm_general_blockdim_kernelILi32ELi32EdEEv20rocsparse_direction_20rocsparse_operation_iiNS_24const_host_device_scalarIT1_EEPKiS7_PKS4_iiS9_lS5_PS4_l21rocsparse_index_base_b,comdat
.Lfunc_end1:
	.size	_ZN9rocsparseL31gebsrmm_general_blockdim_kernelILi32ELi32EdEEv20rocsparse_direction_20rocsparse_operation_iiNS_24const_host_device_scalarIT1_EEPKiS7_PKS4_iiS9_lS5_PS4_l21rocsparse_index_base_b, .Lfunc_end1-_ZN9rocsparseL31gebsrmm_general_blockdim_kernelILi32ELi32EdEEv20rocsparse_direction_20rocsparse_operation_iiNS_24const_host_device_scalarIT1_EEPKiS7_PKS4_iiS9_lS5_PS4_l21rocsparse_index_base_b
                                        ; -- End function
	.set _ZN9rocsparseL31gebsrmm_general_blockdim_kernelILi32ELi32EdEEv20rocsparse_direction_20rocsparse_operation_iiNS_24const_host_device_scalarIT1_EEPKiS7_PKS4_iiS9_lS5_PS4_l21rocsparse_index_base_b.num_vgpr, 40
	.set _ZN9rocsparseL31gebsrmm_general_blockdim_kernelILi32ELi32EdEEv20rocsparse_direction_20rocsparse_operation_iiNS_24const_host_device_scalarIT1_EEPKiS7_PKS4_iiS9_lS5_PS4_l21rocsparse_index_base_b.num_agpr, 0
	.set _ZN9rocsparseL31gebsrmm_general_blockdim_kernelILi32ELi32EdEEv20rocsparse_direction_20rocsparse_operation_iiNS_24const_host_device_scalarIT1_EEPKiS7_PKS4_iiS9_lS5_PS4_l21rocsparse_index_base_b.numbered_sgpr, 30
	.set _ZN9rocsparseL31gebsrmm_general_blockdim_kernelILi32ELi32EdEEv20rocsparse_direction_20rocsparse_operation_iiNS_24const_host_device_scalarIT1_EEPKiS7_PKS4_iiS9_lS5_PS4_l21rocsparse_index_base_b.num_named_barrier, 0
	.set _ZN9rocsparseL31gebsrmm_general_blockdim_kernelILi32ELi32EdEEv20rocsparse_direction_20rocsparse_operation_iiNS_24const_host_device_scalarIT1_EEPKiS7_PKS4_iiS9_lS5_PS4_l21rocsparse_index_base_b.private_seg_size, 0
	.set _ZN9rocsparseL31gebsrmm_general_blockdim_kernelILi32ELi32EdEEv20rocsparse_direction_20rocsparse_operation_iiNS_24const_host_device_scalarIT1_EEPKiS7_PKS4_iiS9_lS5_PS4_l21rocsparse_index_base_b.uses_vcc, 1
	.set _ZN9rocsparseL31gebsrmm_general_blockdim_kernelILi32ELi32EdEEv20rocsparse_direction_20rocsparse_operation_iiNS_24const_host_device_scalarIT1_EEPKiS7_PKS4_iiS9_lS5_PS4_l21rocsparse_index_base_b.uses_flat_scratch, 0
	.set _ZN9rocsparseL31gebsrmm_general_blockdim_kernelILi32ELi32EdEEv20rocsparse_direction_20rocsparse_operation_iiNS_24const_host_device_scalarIT1_EEPKiS7_PKS4_iiS9_lS5_PS4_l21rocsparse_index_base_b.has_dyn_sized_stack, 0
	.set _ZN9rocsparseL31gebsrmm_general_blockdim_kernelILi32ELi32EdEEv20rocsparse_direction_20rocsparse_operation_iiNS_24const_host_device_scalarIT1_EEPKiS7_PKS4_iiS9_lS5_PS4_l21rocsparse_index_base_b.has_recursion, 0
	.set _ZN9rocsparseL31gebsrmm_general_blockdim_kernelILi32ELi32EdEEv20rocsparse_direction_20rocsparse_operation_iiNS_24const_host_device_scalarIT1_EEPKiS7_PKS4_iiS9_lS5_PS4_l21rocsparse_index_base_b.has_indirect_call, 0
	.section	.AMDGPU.csdata,"",@progbits
; Kernel info:
; codeLenInByte = 1868
; TotalNumSgprs: 32
; NumVgprs: 40
; ScratchSize: 0
; MemoryBound: 0
; FloatMode: 240
; IeeeMode: 1
; LDSByteSize: 16384 bytes/workgroup (compile time only)
; SGPRBlocks: 0
; VGPRBlocks: 2
; NumSGPRsForWavesPerEU: 32
; NumVGPRsForWavesPerEU: 40
; NamedBarCnt: 0
; Occupancy: 16
; WaveLimiterHint : 1
; COMPUTE_PGM_RSRC2:SCRATCH_EN: 0
; COMPUTE_PGM_RSRC2:USER_SGPR: 2
; COMPUTE_PGM_RSRC2:TRAP_HANDLER: 0
; COMPUTE_PGM_RSRC2:TGID_X_EN: 1
; COMPUTE_PGM_RSRC2:TGID_Y_EN: 1
; COMPUTE_PGM_RSRC2:TGID_Z_EN: 0
; COMPUTE_PGM_RSRC2:TIDIG_COMP_CNT: 1
	.section	.text._ZN9rocsparseL31gebsrmm_general_blockdim_kernelILi32ELi32E21rocsparse_complex_numIfEEEv20rocsparse_direction_20rocsparse_operation_iiNS_24const_host_device_scalarIT1_EEPKiS9_PKS6_iiSB_lS7_PS6_l21rocsparse_index_base_b,"axG",@progbits,_ZN9rocsparseL31gebsrmm_general_blockdim_kernelILi32ELi32E21rocsparse_complex_numIfEEEv20rocsparse_direction_20rocsparse_operation_iiNS_24const_host_device_scalarIT1_EEPKiS9_PKS6_iiSB_lS7_PS6_l21rocsparse_index_base_b,comdat
	.globl	_ZN9rocsparseL31gebsrmm_general_blockdim_kernelILi32ELi32E21rocsparse_complex_numIfEEEv20rocsparse_direction_20rocsparse_operation_iiNS_24const_host_device_scalarIT1_EEPKiS9_PKS6_iiSB_lS7_PS6_l21rocsparse_index_base_b ; -- Begin function _ZN9rocsparseL31gebsrmm_general_blockdim_kernelILi32ELi32E21rocsparse_complex_numIfEEEv20rocsparse_direction_20rocsparse_operation_iiNS_24const_host_device_scalarIT1_EEPKiS9_PKS6_iiSB_lS7_PS6_l21rocsparse_index_base_b
	.p2align	8
	.type	_ZN9rocsparseL31gebsrmm_general_blockdim_kernelILi32ELi32E21rocsparse_complex_numIfEEEv20rocsparse_direction_20rocsparse_operation_iiNS_24const_host_device_scalarIT1_EEPKiS9_PKS6_iiSB_lS7_PS6_l21rocsparse_index_base_b,@function
_ZN9rocsparseL31gebsrmm_general_blockdim_kernelILi32ELi32E21rocsparse_complex_numIfEEEv20rocsparse_direction_20rocsparse_operation_iiNS_24const_host_device_scalarIT1_EEPKiS9_PKS6_iiSB_lS7_PS6_l21rocsparse_index_base_b: ; @_ZN9rocsparseL31gebsrmm_general_blockdim_kernelILi32ELi32E21rocsparse_complex_numIfEEEv20rocsparse_direction_20rocsparse_operation_iiNS_24const_host_device_scalarIT1_EEPKiS9_PKS6_iiSB_lS7_PS6_l21rocsparse_index_base_b
; %bb.0:
	s_clause 0x2
	s_load_b64 s[20:21], s[0:1], 0x60
	s_load_b64 s[2:3], s[0:1], 0x10
	s_load_b128 s[8:11], s[0:1], 0x40
	v_mov_b32_e32 v1, 0
	s_add_nc_u64 s[4:5], s[0:1], 16
	s_add_nc_u64 s[6:7], s[0:1], 0x48
	s_wait_kmcnt 0x0
	s_bitcmp1_b32 s21, 0
	s_mov_b32 s21, 0
	s_cselect_b32 s3, s5, s3
	s_cselect_b32 s2, s4, s2
	;; [unrolled: 1-line block ×4, first 2 shown]
	s_clause 0x1
	flat_load_b64 v[2:3], v1, s[2:3]
	flat_load_b64 v[4:5], v1, s[4:5]
	s_wait_loadcnt_dscnt 0x101
	s_wait_xcnt 0x1
	v_cmp_eq_f32_e64 s2, 0, v2
	v_cmp_eq_f32_e64 s3, 0, v3
	s_wait_loadcnt_dscnt 0x0
	v_cmp_eq_f32_e64 s4, 1.0, v4
	v_cmp_eq_f32_e32 vcc_lo, 0, v5
	s_and_b32 s2, s2, s3
	s_and_b32 s3, s4, vcc_lo
	s_delay_alu instid0(SALU_CYCLE_1) | instskip(NEXT) | instid1(SALU_CYCLE_1)
	s_and_b32 s2, s2, s3
	s_xor_b32 s2, s2, -1
	s_delay_alu instid0(SALU_CYCLE_1)
	s_and_saveexec_b32 s3, s2
	s_cbranch_execz .LBB2_45
; %bb.1:
	s_load_b128 s[12:15], s[0:1], 0x0
	s_bfe_u32 s2, ttmp6, 0x4000c
	s_and_b32 s3, ttmp6, 15
	s_add_co_i32 s2, s2, 1
	s_getreg_b32 s4, hwreg(HW_REG_IB_STS2, 6, 4)
	s_mul_i32 s2, ttmp9, s2
	s_delay_alu instid0(SALU_CYCLE_1)
	s_add_co_i32 s3, s3, s2
	s_cmp_eq_u32 s4, 0
	s_cselect_b32 s10, ttmp9, s3
	s_wait_kmcnt 0x0
	s_cmp_lt_i32 s10, s14
	s_cselect_b32 s24, -1, 0
	s_cmp_ge_i32 s10, s14
	s_mov_b32 s14, 0
	s_cbranch_scc1 .LBB2_3
; %bb.2:
	s_load_b64 s[2:3], s[0:1], 0x18
	s_ashr_i32 s11, s10, 31
	s_delay_alu instid0(SALU_CYCLE_1)
	s_lshl_b64 s[6:7], s[10:11], 2
	s_wait_kmcnt 0x0
	s_add_nc_u64 s[2:3], s[2:3], s[6:7]
	s_load_b64 s[6:7], s[2:3], 0x0
	s_wait_kmcnt 0x0
	s_sub_co_i32 s21, s6, s20
	s_sub_co_i32 s14, s7, s20
.LBB2_3:
	s_load_b64 s[2:3], s[0:1], 0x30
	s_wait_kmcnt 0x0
	s_cmp_lt_i32 s2, 1
	s_cbranch_scc1 .LBB2_45
; %bb.4:
	s_bfe_u32 s5, ttmp6, 0x40010
	s_load_b128 s[16:19], s[0:1], 0x50
	s_add_co_i32 s5, s5, 1
	s_bfe_u32 s6, ttmp6, 0x40004
	s_mul_i32 s5, ttmp7, s5
	v_bfe_u32 v20, v0, 10, 10
	s_add_co_i32 s6, s6, s5
	s_cmp_eq_u32 s4, 0
	v_and_b32_e32 v21, 0x3ff, v0
	s_cselect_b32 s4, ttmp7, s6
	s_cmp_lt_i32 s21, s14
	v_lshl_add_u32 v8, s4, 5, v20
	s_clause 0x1
	s_load_b128 s[4:7], s[0:1], 0x20
	s_load_b64 s[26:27], s[0:1], 0x38
	v_mad_u32 v14, s21, s2, v21
	v_dual_lshlrev_b32 v22, 3, v21 :: v_dual_lshlrev_b32 v23, 8, v20
	v_dual_ashrrev_i32 v9, 31, v8 :: v_dual_mov_b32 v1, v2
	s_cselect_b32 s22, -1, 0
	s_delay_alu instid0(VALU_DEP_2) | instskip(SKIP_1) | instid1(VALU_DEP_2)
	v_or_b32_e32 v15, 0x2000, v22
	s_cmp_gt_i32 s3, 0
	v_mul_u64_e32 v[10:11], s[8:9], v[8:9]
	s_wait_kmcnt 0x0
	v_mul_u64_e32 v[12:13], s[18:19], v[8:9]
	s_cselect_b32 s23, -1, 0
	v_mad_u32 v28, s3, v14, v20
	s_cmp_lg_u32 s13, 0x6f
	v_cmp_neq_f32_e64 s1, 0, v4
	v_cmp_gt_i32_e64 s0, s15, v8
	s_cselect_b32 s13, -1, 0
	s_cmp_lg_u32 s12, 0
	v_xor_b32_e32 v0, 0x80000000, v3
	v_xor_b32_e32 v6, 0x80000000, v5
	v_dual_mov_b32 v7, v4 :: v_dual_add_nc_u32 v24, v22, v23
	v_add_nc_u32_e32 v25, 0x800, v22
	v_add_nc_u32_e32 v26, 0x1000, v22
	;; [unrolled: 1-line block ×3, first 2 shown]
	v_lshl_add_u64 v[8:9], v[8:9], 3, s[26:27]
	v_add_nc_u32_e32 v29, 0x1800, v22
	s_mul_i32 s19, s2, s10
	s_cselect_b32 s12, -1, 0
	s_xor_b32 s10, vcc_lo, -1
	s_mov_b32 s18, 0
	s_and_b32 s15, s24, s0
	s_mul_i32 s24, s3, s2
	v_lshl_add_u64 v[10:11], v[10:11], 3, s[26:27]
	v_lshl_add_u64 v[12:13], v[12:13], 3, s[16:17]
	s_or_b32 s16, s1, s10
	s_lshl_b32 s17, s3, 5
	s_branch .LBB2_6
.LBB2_5:                                ;   in Loop: Header=BB2_6 Depth=1
	s_wait_xcnt 0x0
	s_or_b32 exec_lo, exec_lo, s1
	v_add_nc_u32_e32 v28, s17, v28
	s_add_co_i32 s18, s18, 32
	s_delay_alu instid0(SALU_CYCLE_1)
	s_cmp_lt_i32 s18, s2
	s_cbranch_scc0 .LBB2_45
.LBB2_6:                                ; =>This Loop Header: Depth=1
                                        ;     Child Loop BB2_9 Depth 2
                                        ;       Child Loop BB2_12 Depth 3
	v_add_nc_u32_e32 v30, s18, v21
	v_mov_b64_e32 v[14:15], 0
	s_and_not1_b32 vcc_lo, exec_lo, s22
	s_delay_alu instid0(VALU_DEP_2)
	v_cmp_gt_i32_e64 s1, s2, v30
	s_cbranch_vccnz .LBB2_40
; %bb.7:                                ;   in Loop: Header=BB2_6 Depth=1
	v_mov_b32_e32 v31, v28
	s_mov_b32 s10, s21
	s_branch .LBB2_9
.LBB2_8:                                ;   in Loop: Header=BB2_9 Depth=2
	v_add_nc_u32_e32 v31, s24, v31
	s_add_co_i32 s10, s10, 1
	s_delay_alu instid0(SALU_CYCLE_1)
	s_cmp_ge_i32 s10, s14
	s_cbranch_scc1 .LBB2_40
.LBB2_9:                                ;   Parent Loop BB2_6 Depth=1
                                        ; =>  This Loop Header: Depth=2
                                        ;       Child Loop BB2_12 Depth 3
	s_and_not1_b32 vcc_lo, exec_lo, s23
	s_cbranch_vccnz .LBB2_8
; %bb.10:                               ;   in Loop: Header=BB2_9 Depth=2
	s_ashr_i32 s11, s10, 31
	s_mov_b32 s25, 0
	s_lshl_b64 s[26:27], s[10:11], 2
	s_delay_alu instid0(SALU_CYCLE_1) | instskip(SKIP_3) | instid1(SALU_CYCLE_1)
	s_add_nc_u64 s[26:27], s[4:5], s[26:27]
	s_load_b32 s11, s[26:27], 0x0
	s_wait_kmcnt 0x0
	s_sub_co_i32 s11, s11, s20
	v_mad_u32 v32, s11, s3, v21
	s_mul_i32 s11, s10, s3
	s_branch .LBB2_12
.LBB2_11:                               ;   in Loop: Header=BB2_12 Depth=3
	s_wait_xcnt 0x0
	s_or_b32 exec_lo, exec_lo, s27
	s_wait_loadcnt 0x0
	ds_store_b64 v24, v[16:17]
	s_wait_dscnt 0x0
	s_barrier_signal -1
	s_barrier_wait -1
	ds_load_2addr_b64 v[16:19], v22 offset1:32
	ds_load_b128 v[34:37], v23 offset:8192
	ds_load_b128 v[38:41], v23 offset:8208
	ds_load_2addr_b64 v[42:45], v22 offset0:64 offset1:96
	s_add_co_i32 s25, s25, 32
	s_delay_alu instid0(SALU_CYCLE_1) | instskip(SKIP_2) | instid1(VALU_DEP_1)
	s_cmp_ge_i32 s25, s3
	s_wait_dscnt 0x2
	v_pk_fma_f32 v[14:15], v[16:17], v[34:35], v[14:15] op_sel_hi:[1,0,1]
	v_pk_fma_f32 v[14:15], v[16:17], v[34:35], v[14:15] op_sel:[1,1,0] op_sel_hi:[0,1,1] neg_lo:[1,0,0]
	v_mov_b32_e32 v16, v37
	s_delay_alu instid0(VALU_DEP_2) | instskip(NEXT) | instid1(VALU_DEP_1)
	v_pk_fma_f32 v[14:15], v[18:19], v[36:37], v[14:15] op_sel_hi:[1,0,1]
	v_pk_fma_f32 v[18:19], v[18:19], v[16:17], v[14:15] op_sel:[1,0,0] op_sel_hi:[0,0,1] neg_lo:[1,0,0]
	ds_load_b128 v[14:17], v23 offset:8224
	ds_load_2addr_b64 v[34:37], v22 offset0:128 offset1:160
	s_wait_dscnt 0x2
	v_pk_fma_f32 v[18:19], v[42:43], v[38:39], v[18:19] op_sel_hi:[1,0,1]
	s_delay_alu instid0(VALU_DEP_1) | instskip(SKIP_1) | instid1(VALU_DEP_2)
	v_pk_fma_f32 v[18:19], v[42:43], v[38:39], v[18:19] op_sel:[1,1,0] op_sel_hi:[0,1,1] neg_lo:[1,0,0]
	v_mov_b32_e32 v38, v41
	v_pk_fma_f32 v[18:19], v[44:45], v[40:41], v[18:19] op_sel_hi:[1,0,1]
	s_delay_alu instid0(VALU_DEP_1) | instskip(SKIP_4) | instid1(VALU_DEP_1)
	v_pk_fma_f32 v[18:19], v[44:45], v[38:39], v[18:19] op_sel:[1,0,0] op_sel_hi:[0,0,1] neg_lo:[1,0,0]
	ds_load_b128 v[38:41], v23 offset:8240
	ds_load_2addr_b64 v[42:45], v22 offset0:192 offset1:224
	s_wait_dscnt 0x2
	v_pk_fma_f32 v[18:19], v[34:35], v[14:15], v[18:19] op_sel_hi:[1,0,1]
	v_pk_fma_f32 v[14:15], v[34:35], v[14:15], v[18:19] op_sel:[1,1,0] op_sel_hi:[0,1,1] neg_lo:[1,0,0]
	v_mov_b32_e32 v18, v17
	s_delay_alu instid0(VALU_DEP_2) | instskip(NEXT) | instid1(VALU_DEP_1)
	v_pk_fma_f32 v[14:15], v[36:37], v[16:17], v[14:15] op_sel_hi:[1,0,1]
	v_pk_fma_f32 v[18:19], v[36:37], v[18:19], v[14:15] op_sel:[1,0,0] op_sel_hi:[0,0,1] neg_lo:[1,0,0]
	ds_load_b128 v[14:17], v23 offset:8256
	ds_load_2addr_b64 v[34:37], v25 offset1:32
	s_wait_dscnt 0x2
	v_pk_fma_f32 v[18:19], v[42:43], v[38:39], v[18:19] op_sel_hi:[1,0,1]
	s_delay_alu instid0(VALU_DEP_1) | instskip(SKIP_1) | instid1(VALU_DEP_2)
	v_pk_fma_f32 v[18:19], v[42:43], v[38:39], v[18:19] op_sel:[1,1,0] op_sel_hi:[0,1,1] neg_lo:[1,0,0]
	v_mov_b32_e32 v38, v41
	v_pk_fma_f32 v[18:19], v[44:45], v[40:41], v[18:19] op_sel_hi:[1,0,1]
	s_delay_alu instid0(VALU_DEP_1) | instskip(SKIP_4) | instid1(VALU_DEP_1)
	v_pk_fma_f32 v[18:19], v[44:45], v[38:39], v[18:19] op_sel:[1,0,0] op_sel_hi:[0,0,1] neg_lo:[1,0,0]
	ds_load_b128 v[38:41], v23 offset:8272
	ds_load_2addr_b64 v[42:45], v25 offset0:64 offset1:96
	s_wait_dscnt 0x2
	v_pk_fma_f32 v[18:19], v[34:35], v[14:15], v[18:19] op_sel_hi:[1,0,1]
	v_pk_fma_f32 v[14:15], v[34:35], v[14:15], v[18:19] op_sel:[1,1,0] op_sel_hi:[0,1,1] neg_lo:[1,0,0]
	v_mov_b32_e32 v18, v17
	s_delay_alu instid0(VALU_DEP_2) | instskip(NEXT) | instid1(VALU_DEP_1)
	v_pk_fma_f32 v[14:15], v[36:37], v[16:17], v[14:15] op_sel_hi:[1,0,1]
	v_pk_fma_f32 v[18:19], v[36:37], v[18:19], v[14:15] op_sel:[1,0,0] op_sel_hi:[0,0,1] neg_lo:[1,0,0]
	ds_load_b128 v[14:17], v23 offset:8288
	ds_load_2addr_b64 v[34:37], v25 offset0:128 offset1:160
	s_wait_dscnt 0x2
	v_pk_fma_f32 v[18:19], v[42:43], v[38:39], v[18:19] op_sel_hi:[1,0,1]
	s_delay_alu instid0(VALU_DEP_1) | instskip(SKIP_1) | instid1(VALU_DEP_2)
	v_pk_fma_f32 v[18:19], v[42:43], v[38:39], v[18:19] op_sel:[1,1,0] op_sel_hi:[0,1,1] neg_lo:[1,0,0]
	v_mov_b32_e32 v38, v41
	v_pk_fma_f32 v[18:19], v[44:45], v[40:41], v[18:19] op_sel_hi:[1,0,1]
	s_delay_alu instid0(VALU_DEP_1) | instskip(SKIP_4) | instid1(VALU_DEP_1)
	v_pk_fma_f32 v[18:19], v[44:45], v[38:39], v[18:19] op_sel:[1,0,0] op_sel_hi:[0,0,1] neg_lo:[1,0,0]
	ds_load_b128 v[38:41], v23 offset:8304
	ds_load_2addr_b64 v[42:45], v25 offset0:192 offset1:224
	s_wait_dscnt 0x2
	v_pk_fma_f32 v[18:19], v[34:35], v[14:15], v[18:19] op_sel_hi:[1,0,1]
	v_pk_fma_f32 v[14:15], v[34:35], v[14:15], v[18:19] op_sel:[1,1,0] op_sel_hi:[0,1,1] neg_lo:[1,0,0]
	v_mov_b32_e32 v18, v17
	s_delay_alu instid0(VALU_DEP_2) | instskip(NEXT) | instid1(VALU_DEP_1)
	v_pk_fma_f32 v[14:15], v[36:37], v[16:17], v[14:15] op_sel_hi:[1,0,1]
	v_pk_fma_f32 v[18:19], v[36:37], v[18:19], v[14:15] op_sel:[1,0,0] op_sel_hi:[0,0,1] neg_lo:[1,0,0]
	ds_load_b128 v[14:17], v23 offset:8320
	ds_load_2addr_b64 v[34:37], v26 offset1:32
	s_wait_dscnt 0x2
	v_pk_fma_f32 v[18:19], v[42:43], v[38:39], v[18:19] op_sel_hi:[1,0,1]
	s_delay_alu instid0(VALU_DEP_1) | instskip(SKIP_1) | instid1(VALU_DEP_2)
	v_pk_fma_f32 v[18:19], v[42:43], v[38:39], v[18:19] op_sel:[1,1,0] op_sel_hi:[0,1,1] neg_lo:[1,0,0]
	v_mov_b32_e32 v38, v41
	v_pk_fma_f32 v[18:19], v[44:45], v[40:41], v[18:19] op_sel_hi:[1,0,1]
	s_delay_alu instid0(VALU_DEP_1) | instskip(SKIP_4) | instid1(VALU_DEP_1)
	v_pk_fma_f32 v[18:19], v[44:45], v[38:39], v[18:19] op_sel:[1,0,0] op_sel_hi:[0,0,1] neg_lo:[1,0,0]
	ds_load_b128 v[38:41], v23 offset:8336
	ds_load_2addr_b64 v[42:45], v26 offset0:64 offset1:96
	;; [unrolled: 38-line block ×3, first 2 shown]
	s_wait_dscnt 0x2
	v_pk_fma_f32 v[18:19], v[34:35], v[14:15], v[18:19] op_sel_hi:[1,0,1]
	v_pk_fma_f32 v[14:15], v[34:35], v[14:15], v[18:19] op_sel:[1,1,0] op_sel_hi:[0,1,1] neg_lo:[1,0,0]
	v_mov_b32_e32 v18, v17
	s_delay_alu instid0(VALU_DEP_2) | instskip(NEXT) | instid1(VALU_DEP_1)
	v_pk_fma_f32 v[14:15], v[36:37], v[16:17], v[14:15] op_sel_hi:[1,0,1]
	v_pk_fma_f32 v[18:19], v[36:37], v[18:19], v[14:15] op_sel:[1,0,0] op_sel_hi:[0,0,1] neg_lo:[1,0,0]
	ds_load_b128 v[14:17], v23 offset:8416
	ds_load_2addr_b64 v[34:37], v29 offset0:128 offset1:160
	s_wait_dscnt 0x2
	v_pk_fma_f32 v[18:19], v[42:43], v[38:39], v[18:19] op_sel_hi:[1,0,1]
	s_delay_alu instid0(VALU_DEP_1) | instskip(SKIP_1) | instid1(VALU_DEP_2)
	v_pk_fma_f32 v[18:19], v[42:43], v[38:39], v[18:19] op_sel:[1,1,0] op_sel_hi:[0,1,1] neg_lo:[1,0,0]
	v_mov_b32_e32 v38, v41
	v_pk_fma_f32 v[18:19], v[44:45], v[40:41], v[18:19] op_sel_hi:[1,0,1]
	s_delay_alu instid0(VALU_DEP_1)
	v_pk_fma_f32 v[18:19], v[44:45], v[38:39], v[18:19] op_sel:[1,0,0] op_sel_hi:[0,0,1] neg_lo:[1,0,0]
	ds_load_b128 v[38:41], v23 offset:8432
	ds_load_2addr_b64 v[42:45], v29 offset0:192 offset1:224
	s_wait_dscnt 0x0
	s_barrier_signal -1
	s_barrier_wait -1
	v_pk_fma_f32 v[18:19], v[34:35], v[14:15], v[18:19] op_sel_hi:[1,0,1]
	s_delay_alu instid0(VALU_DEP_1) | instskip(SKIP_1) | instid1(VALU_DEP_2)
	v_pk_fma_f32 v[14:15], v[34:35], v[14:15], v[18:19] op_sel:[1,1,0] op_sel_hi:[0,1,1] neg_lo:[1,0,0]
	v_mov_b32_e32 v18, v17
	v_pk_fma_f32 v[14:15], v[36:37], v[16:17], v[14:15] op_sel_hi:[1,0,1]
	v_mov_b32_e32 v16, v41
	s_delay_alu instid0(VALU_DEP_2) | instskip(NEXT) | instid1(VALU_DEP_1)
	v_pk_fma_f32 v[14:15], v[36:37], v[18:19], v[14:15] op_sel:[1,0,0] op_sel_hi:[0,0,1] neg_lo:[1,0,0]
	v_pk_fma_f32 v[14:15], v[42:43], v[38:39], v[14:15] op_sel_hi:[1,0,1]
	s_delay_alu instid0(VALU_DEP_1) | instskip(NEXT) | instid1(VALU_DEP_1)
	v_pk_fma_f32 v[14:15], v[42:43], v[38:39], v[14:15] op_sel:[1,1,0] op_sel_hi:[0,1,1] neg_lo:[1,0,0]
	v_pk_fma_f32 v[14:15], v[44:45], v[40:41], v[14:15] op_sel_hi:[1,0,1]
	s_delay_alu instid0(VALU_DEP_1)
	v_pk_fma_f32 v[14:15], v[44:45], v[16:17], v[14:15] op_sel:[1,0,0] op_sel_hi:[0,0,1] neg_lo:[1,0,0]
	s_cbranch_scc1 .LBB2_8
.LBB2_12:                               ;   Parent Loop BB2_6 Depth=1
                                        ;     Parent Loop BB2_9 Depth=2
                                        ; =>    This Inner Loop Header: Depth=3
	s_wait_xcnt 0x0
	s_mov_b32 s27, -1
	s_and_b32 vcc_lo, exec_lo, s13
	s_mov_b32 s26, 0
                                        ; implicit-def: $vgpr16_vgpr17
	s_cbranch_vccnz .LBB2_22
; %bb.13:                               ;   in Loop: Header=BB2_12 Depth=3
	s_and_b32 vcc_lo, exec_lo, s27
	s_cbranch_vccnz .LBB2_27
.LBB2_14:                               ;   in Loop: Header=BB2_12 Depth=3
	v_dual_mov_b32 v18, 0 :: v_dual_mov_b32 v19, 0
	s_and_saveexec_b32 s27, s26
	s_cbranch_execnz .LBB2_32
.LBB2_15:                               ;   in Loop: Header=BB2_12 Depth=3
	s_or_b32 exec_lo, exec_lo, s27
	s_delay_alu instid0(SALU_CYCLE_1)
	s_and_b32 vcc_lo, exec_lo, s12
	ds_store_b64 v27, v[18:19]
	s_cbranch_vccz .LBB2_33
.LBB2_16:                               ;   in Loop: Header=BB2_12 Depth=3
	s_mov_b32 s27, 0
	s_mov_b32 s26, 0
                                        ; implicit-def: $vgpr18
	s_and_saveexec_b32 s28, s1
	s_cbranch_execz .LBB2_20
; %bb.17:                               ;   in Loop: Header=BB2_12 Depth=3
	v_add_nc_u32_e32 v16, s25, v20
	s_mov_b32 s29, exec_lo
                                        ; implicit-def: $vgpr18
	s_delay_alu instid0(VALU_DEP_1)
	v_cmpx_gt_i32_e64 s3, v16
	s_xor_b32 s29, exec_lo, s29
; %bb.18:                               ;   in Loop: Header=BB2_12 Depth=3
	v_add_nc_u32_e32 v16, s11, v16
	s_mov_b32 s26, exec_lo
	s_delay_alu instid0(VALU_DEP_1)
	v_mad_u32 v18, v16, s2, v30
; %bb.19:                               ;   in Loop: Header=BB2_12 Depth=3
	s_or_b32 exec_lo, exec_lo, s29
	s_delay_alu instid0(SALU_CYCLE_1)
	s_and_b32 s26, s26, exec_lo
.LBB2_20:                               ;   in Loop: Header=BB2_12 Depth=3
	s_or_b32 exec_lo, exec_lo, s28
	s_delay_alu instid0(SALU_CYCLE_1)
	s_and_b32 vcc_lo, exec_lo, s27
	s_cbranch_vccnz .LBB2_34
.LBB2_21:                               ;   in Loop: Header=BB2_12 Depth=3
	v_dual_mov_b32 v16, 0 :: v_dual_mov_b32 v17, 0
	s_and_saveexec_b32 s27, s26
	s_cbranch_execz .LBB2_11
	s_branch .LBB2_39
.LBB2_22:                               ;   in Loop: Header=BB2_12 Depth=3
	s_mov_b32 s27, 0
                                        ; implicit-def: $vgpr16_vgpr17
	s_and_saveexec_b32 s28, s0
	s_cbranch_execz .LBB2_26
; %bb.23:                               ;   in Loop: Header=BB2_12 Depth=3
	v_add_nc_u32_e32 v16, s25, v21
	s_delay_alu instid0(VALU_DEP_1) | instskip(SKIP_1) | instid1(SALU_CYCLE_1)
	v_cmp_gt_i32_e32 vcc_lo, s3, v16
                                        ; implicit-def: $vgpr16_vgpr17
	s_and_saveexec_b32 s29, vcc_lo
	s_xor_b32 s29, exec_lo, s29
	s_cbranch_execz .LBB2_25
; %bb.24:                               ;   in Loop: Header=BB2_12 Depth=3
	v_add_nc_u32_e32 v16, s25, v32
	s_mov_b32 s26, exec_lo
	s_delay_alu instid0(VALU_DEP_1) | instskip(NEXT) | instid1(VALU_DEP_1)
	v_ashrrev_i32_e32 v17, 31, v16
	v_mul_u64_e32 v[16:17], s[8:9], v[16:17]
	s_delay_alu instid0(VALU_DEP_1)
	v_lshl_add_u64 v[16:17], v[16:17], 3, v[8:9]
.LBB2_25:                               ;   in Loop: Header=BB2_12 Depth=3
	s_or_b32 exec_lo, exec_lo, s29
	s_delay_alu instid0(SALU_CYCLE_1)
	s_and_b32 s26, s26, exec_lo
.LBB2_26:                               ;   in Loop: Header=BB2_12 Depth=3
	s_or_b32 exec_lo, exec_lo, s28
	s_delay_alu instid0(SALU_CYCLE_1)
	s_and_b32 vcc_lo, exec_lo, s27
	s_cbranch_vccz .LBB2_14
.LBB2_27:                               ;   in Loop: Header=BB2_12 Depth=3
                                        ; implicit-def: $vgpr16_vgpr17
	s_and_saveexec_b32 s27, s0
	s_cbranch_execz .LBB2_31
; %bb.28:                               ;   in Loop: Header=BB2_12 Depth=3
	v_add_nc_u32_e32 v16, s25, v21
	s_mov_b32 s29, s26
	s_delay_alu instid0(VALU_DEP_1)
	v_cmp_gt_i32_e32 vcc_lo, s3, v16
                                        ; implicit-def: $vgpr16_vgpr17
	s_and_saveexec_b32 s28, vcc_lo
; %bb.29:                               ;   in Loop: Header=BB2_12 Depth=3
	v_add_nc_u32_e32 v16, s25, v32
	s_or_b32 s29, s26, exec_lo
	s_delay_alu instid0(VALU_DEP_1) | instskip(NEXT) | instid1(VALU_DEP_1)
	v_ashrrev_i32_e32 v17, 31, v16
	v_lshl_add_u64 v[16:17], v[16:17], 3, v[10:11]
; %bb.30:                               ;   in Loop: Header=BB2_12 Depth=3
	s_or_b32 exec_lo, exec_lo, s28
	s_delay_alu instid0(SALU_CYCLE_1) | instskip(SKIP_1) | instid1(SALU_CYCLE_1)
	s_and_not1_b32 s26, s26, exec_lo
	s_and_b32 s28, s29, exec_lo
	s_or_b32 s26, s26, s28
.LBB2_31:                               ;   in Loop: Header=BB2_12 Depth=3
	s_or_b32 exec_lo, exec_lo, s27
	v_dual_mov_b32 v18, 0 :: v_dual_mov_b32 v19, 0
	s_and_saveexec_b32 s27, s26
	s_cbranch_execz .LBB2_15
.LBB2_32:                               ;   in Loop: Header=BB2_12 Depth=3
	global_load_b64 v[18:19], v[16:17], off
	s_wait_xcnt 0x0
	s_or_b32 exec_lo, exec_lo, s27
	s_delay_alu instid0(SALU_CYCLE_1)
	s_and_b32 vcc_lo, exec_lo, s12
	s_wait_loadcnt 0x0
	ds_store_b64 v27, v[18:19]
	s_cbranch_vccnz .LBB2_16
.LBB2_33:                               ;   in Loop: Header=BB2_12 Depth=3
	s_mov_b32 s26, 0
                                        ; implicit-def: $vgpr18
	s_cbranch_execz .LBB2_21
.LBB2_34:                               ;   in Loop: Header=BB2_12 Depth=3
                                        ; implicit-def: $vgpr18
	s_and_saveexec_b32 s27, s1
	s_cbranch_execz .LBB2_38
; %bb.35:                               ;   in Loop: Header=BB2_12 Depth=3
	v_add_nc_u32_e32 v16, s25, v20
	s_mov_b32 s28, s26
	s_mov_b32 s29, exec_lo
                                        ; implicit-def: $vgpr18
	s_delay_alu instid0(VALU_DEP_1)
	v_cmpx_gt_i32_e64 s3, v16
; %bb.36:                               ;   in Loop: Header=BB2_12 Depth=3
	v_add_nc_u32_e32 v18, s25, v31
	s_or_b32 s28, s26, exec_lo
; %bb.37:                               ;   in Loop: Header=BB2_12 Depth=3
	s_or_b32 exec_lo, exec_lo, s29
	s_delay_alu instid0(SALU_CYCLE_1) | instskip(SKIP_1) | instid1(SALU_CYCLE_1)
	s_and_not1_b32 s26, s26, exec_lo
	s_and_b32 s28, s28, exec_lo
	s_or_b32 s26, s26, s28
.LBB2_38:                               ;   in Loop: Header=BB2_12 Depth=3
	s_or_b32 exec_lo, exec_lo, s27
	v_dual_mov_b32 v16, 0 :: v_dual_mov_b32 v17, 0
	s_and_saveexec_b32 s27, s26
	s_cbranch_execz .LBB2_11
.LBB2_39:                               ;   in Loop: Header=BB2_12 Depth=3
	global_load_b64 v[16:17], v18, s[6:7] scale_offset
	s_branch .LBB2_11
.LBB2_40:                               ;   in Loop: Header=BB2_6 Depth=1
	v_cmp_gt_i32_e32 vcc_lo, s2, v30
	s_and_b32 s10, s15, vcc_lo
	s_delay_alu instid0(SALU_CYCLE_1)
	s_and_saveexec_b32 s1, s10
	s_cbranch_execz .LBB2_5
; %bb.41:                               ;   in Loop: Header=BB2_6 Depth=1
	v_add_nc_u32_e32 v16, s19, v30
	s_and_saveexec_b32 s10, s16
	s_delay_alu instid0(SALU_CYCLE_1)
	s_xor_b32 s10, exec_lo, s10
	s_cbranch_execz .LBB2_43
; %bb.42:                               ;   in Loop: Header=BB2_6 Depth=1
	s_delay_alu instid0(VALU_DEP_1) | instskip(SKIP_1) | instid1(VALU_DEP_2)
	v_ashrrev_i32_e32 v17, 31, v16
	v_pk_mul_f32 v[30:31], v[14:15], v[0:1] op_sel:[1,0]
	v_lshl_add_u64 v[16:17], v[16:17], 3, v[12:13]
	s_delay_alu instid0(VALU_DEP_2) | instskip(SKIP_3) | instid1(VALU_DEP_1)
	v_pk_fma_f32 v[14:15], v[2:3], v[14:15], v[30:31] op_sel_hi:[1,0,1]
	global_load_b64 v[18:19], v[16:17], off
	s_wait_loadcnt 0x0
	v_pk_fma_f32 v[14:15], v[4:5], v[18:19], v[14:15] op_sel_hi:[1,0,1]
	v_pk_fma_f32 v[14:15], v[6:7], v[18:19], v[14:15] op_sel:[0,1,0]
	global_store_b64 v[16:17], v[14:15], off
                                        ; implicit-def: $vgpr14_vgpr15
                                        ; implicit-def: $vgpr16
.LBB2_43:                               ;   in Loop: Header=BB2_6 Depth=1
	s_wait_xcnt 0x0
	s_and_not1_saveexec_b32 s10, s10
	s_cbranch_execz .LBB2_5
; %bb.44:                               ;   in Loop: Header=BB2_6 Depth=1
	v_ashrrev_i32_e32 v17, 31, v16
	v_pk_mul_f32 v[18:19], v[14:15], v[0:1] op_sel:[1,0]
	s_delay_alu instid0(VALU_DEP_2) | instskip(NEXT) | instid1(VALU_DEP_2)
	v_lshl_add_u64 v[16:17], v[16:17], 3, v[12:13]
	v_pk_fma_f32 v[14:15], v[2:3], v[14:15], v[18:19] op_sel_hi:[1,0,1]
	global_store_b64 v[16:17], v[14:15], off
	s_branch .LBB2_5
.LBB2_45:
	s_endpgm
	.section	.rodata,"a",@progbits
	.p2align	6, 0x0
	.amdhsa_kernel _ZN9rocsparseL31gebsrmm_general_blockdim_kernelILi32ELi32E21rocsparse_complex_numIfEEEv20rocsparse_direction_20rocsparse_operation_iiNS_24const_host_device_scalarIT1_EEPKiS9_PKS6_iiSB_lS7_PS6_l21rocsparse_index_base_b
		.amdhsa_group_segment_fixed_size 16384
		.amdhsa_private_segment_fixed_size 0
		.amdhsa_kernarg_size 104
		.amdhsa_user_sgpr_count 2
		.amdhsa_user_sgpr_dispatch_ptr 0
		.amdhsa_user_sgpr_queue_ptr 0
		.amdhsa_user_sgpr_kernarg_segment_ptr 1
		.amdhsa_user_sgpr_dispatch_id 0
		.amdhsa_user_sgpr_kernarg_preload_length 0
		.amdhsa_user_sgpr_kernarg_preload_offset 0
		.amdhsa_user_sgpr_private_segment_size 0
		.amdhsa_wavefront_size32 1
		.amdhsa_uses_dynamic_stack 0
		.amdhsa_enable_private_segment 0
		.amdhsa_system_sgpr_workgroup_id_x 1
		.amdhsa_system_sgpr_workgroup_id_y 1
		.amdhsa_system_sgpr_workgroup_id_z 0
		.amdhsa_system_sgpr_workgroup_info 0
		.amdhsa_system_vgpr_workitem_id 1
		.amdhsa_next_free_vgpr 46
		.amdhsa_next_free_sgpr 30
		.amdhsa_named_barrier_count 0
		.amdhsa_reserve_vcc 1
		.amdhsa_float_round_mode_32 0
		.amdhsa_float_round_mode_16_64 0
		.amdhsa_float_denorm_mode_32 3
		.amdhsa_float_denorm_mode_16_64 3
		.amdhsa_fp16_overflow 0
		.amdhsa_memory_ordered 1
		.amdhsa_forward_progress 1
		.amdhsa_inst_pref_size 20
		.amdhsa_round_robin_scheduling 0
		.amdhsa_exception_fp_ieee_invalid_op 0
		.amdhsa_exception_fp_denorm_src 0
		.amdhsa_exception_fp_ieee_div_zero 0
		.amdhsa_exception_fp_ieee_overflow 0
		.amdhsa_exception_fp_ieee_underflow 0
		.amdhsa_exception_fp_ieee_inexact 0
		.amdhsa_exception_int_div_zero 0
	.end_amdhsa_kernel
	.section	.text._ZN9rocsparseL31gebsrmm_general_blockdim_kernelILi32ELi32E21rocsparse_complex_numIfEEEv20rocsparse_direction_20rocsparse_operation_iiNS_24const_host_device_scalarIT1_EEPKiS9_PKS6_iiSB_lS7_PS6_l21rocsparse_index_base_b,"axG",@progbits,_ZN9rocsparseL31gebsrmm_general_blockdim_kernelILi32ELi32E21rocsparse_complex_numIfEEEv20rocsparse_direction_20rocsparse_operation_iiNS_24const_host_device_scalarIT1_EEPKiS9_PKS6_iiSB_lS7_PS6_l21rocsparse_index_base_b,comdat
.Lfunc_end2:
	.size	_ZN9rocsparseL31gebsrmm_general_blockdim_kernelILi32ELi32E21rocsparse_complex_numIfEEEv20rocsparse_direction_20rocsparse_operation_iiNS_24const_host_device_scalarIT1_EEPKiS9_PKS6_iiSB_lS7_PS6_l21rocsparse_index_base_b, .Lfunc_end2-_ZN9rocsparseL31gebsrmm_general_blockdim_kernelILi32ELi32E21rocsparse_complex_numIfEEEv20rocsparse_direction_20rocsparse_operation_iiNS_24const_host_device_scalarIT1_EEPKiS9_PKS6_iiSB_lS7_PS6_l21rocsparse_index_base_b
                                        ; -- End function
	.set _ZN9rocsparseL31gebsrmm_general_blockdim_kernelILi32ELi32E21rocsparse_complex_numIfEEEv20rocsparse_direction_20rocsparse_operation_iiNS_24const_host_device_scalarIT1_EEPKiS9_PKS6_iiSB_lS7_PS6_l21rocsparse_index_base_b.num_vgpr, 46
	.set _ZN9rocsparseL31gebsrmm_general_blockdim_kernelILi32ELi32E21rocsparse_complex_numIfEEEv20rocsparse_direction_20rocsparse_operation_iiNS_24const_host_device_scalarIT1_EEPKiS9_PKS6_iiSB_lS7_PS6_l21rocsparse_index_base_b.num_agpr, 0
	.set _ZN9rocsparseL31gebsrmm_general_blockdim_kernelILi32ELi32E21rocsparse_complex_numIfEEEv20rocsparse_direction_20rocsparse_operation_iiNS_24const_host_device_scalarIT1_EEPKiS9_PKS6_iiSB_lS7_PS6_l21rocsparse_index_base_b.numbered_sgpr, 30
	.set _ZN9rocsparseL31gebsrmm_general_blockdim_kernelILi32ELi32E21rocsparse_complex_numIfEEEv20rocsparse_direction_20rocsparse_operation_iiNS_24const_host_device_scalarIT1_EEPKiS9_PKS6_iiSB_lS7_PS6_l21rocsparse_index_base_b.num_named_barrier, 0
	.set _ZN9rocsparseL31gebsrmm_general_blockdim_kernelILi32ELi32E21rocsparse_complex_numIfEEEv20rocsparse_direction_20rocsparse_operation_iiNS_24const_host_device_scalarIT1_EEPKiS9_PKS6_iiSB_lS7_PS6_l21rocsparse_index_base_b.private_seg_size, 0
	.set _ZN9rocsparseL31gebsrmm_general_blockdim_kernelILi32ELi32E21rocsparse_complex_numIfEEEv20rocsparse_direction_20rocsparse_operation_iiNS_24const_host_device_scalarIT1_EEPKiS9_PKS6_iiSB_lS7_PS6_l21rocsparse_index_base_b.uses_vcc, 1
	.set _ZN9rocsparseL31gebsrmm_general_blockdim_kernelILi32ELi32E21rocsparse_complex_numIfEEEv20rocsparse_direction_20rocsparse_operation_iiNS_24const_host_device_scalarIT1_EEPKiS9_PKS6_iiSB_lS7_PS6_l21rocsparse_index_base_b.uses_flat_scratch, 1
	.set _ZN9rocsparseL31gebsrmm_general_blockdim_kernelILi32ELi32E21rocsparse_complex_numIfEEEv20rocsparse_direction_20rocsparse_operation_iiNS_24const_host_device_scalarIT1_EEPKiS9_PKS6_iiSB_lS7_PS6_l21rocsparse_index_base_b.has_dyn_sized_stack, 0
	.set _ZN9rocsparseL31gebsrmm_general_blockdim_kernelILi32ELi32E21rocsparse_complex_numIfEEEv20rocsparse_direction_20rocsparse_operation_iiNS_24const_host_device_scalarIT1_EEPKiS9_PKS6_iiSB_lS7_PS6_l21rocsparse_index_base_b.has_recursion, 0
	.set _ZN9rocsparseL31gebsrmm_general_blockdim_kernelILi32ELi32E21rocsparse_complex_numIfEEEv20rocsparse_direction_20rocsparse_operation_iiNS_24const_host_device_scalarIT1_EEPKiS9_PKS6_iiSB_lS7_PS6_l21rocsparse_index_base_b.has_indirect_call, 0
	.section	.AMDGPU.csdata,"",@progbits
; Kernel info:
; codeLenInByte = 2516
; TotalNumSgprs: 32
; NumVgprs: 46
; ScratchSize: 0
; MemoryBound: 0
; FloatMode: 240
; IeeeMode: 1
; LDSByteSize: 16384 bytes/workgroup (compile time only)
; SGPRBlocks: 0
; VGPRBlocks: 2
; NumSGPRsForWavesPerEU: 32
; NumVGPRsForWavesPerEU: 46
; NamedBarCnt: 0
; Occupancy: 16
; WaveLimiterHint : 0
; COMPUTE_PGM_RSRC2:SCRATCH_EN: 0
; COMPUTE_PGM_RSRC2:USER_SGPR: 2
; COMPUTE_PGM_RSRC2:TRAP_HANDLER: 0
; COMPUTE_PGM_RSRC2:TGID_X_EN: 1
; COMPUTE_PGM_RSRC2:TGID_Y_EN: 1
; COMPUTE_PGM_RSRC2:TGID_Z_EN: 0
; COMPUTE_PGM_RSRC2:TIDIG_COMP_CNT: 1
	.section	.text._ZN9rocsparseL31gebsrmm_general_blockdim_kernelILi32ELi32E21rocsparse_complex_numIdEEEv20rocsparse_direction_20rocsparse_operation_iiNS_24const_host_device_scalarIT1_EEPKiS9_PKS6_iiSB_lS7_PS6_l21rocsparse_index_base_b,"axG",@progbits,_ZN9rocsparseL31gebsrmm_general_blockdim_kernelILi32ELi32E21rocsparse_complex_numIdEEEv20rocsparse_direction_20rocsparse_operation_iiNS_24const_host_device_scalarIT1_EEPKiS9_PKS6_iiSB_lS7_PS6_l21rocsparse_index_base_b,comdat
	.globl	_ZN9rocsparseL31gebsrmm_general_blockdim_kernelILi32ELi32E21rocsparse_complex_numIdEEEv20rocsparse_direction_20rocsparse_operation_iiNS_24const_host_device_scalarIT1_EEPKiS9_PKS6_iiSB_lS7_PS6_l21rocsparse_index_base_b ; -- Begin function _ZN9rocsparseL31gebsrmm_general_blockdim_kernelILi32ELi32E21rocsparse_complex_numIdEEEv20rocsparse_direction_20rocsparse_operation_iiNS_24const_host_device_scalarIT1_EEPKiS9_PKS6_iiSB_lS7_PS6_l21rocsparse_index_base_b
	.p2align	8
	.type	_ZN9rocsparseL31gebsrmm_general_blockdim_kernelILi32ELi32E21rocsparse_complex_numIdEEEv20rocsparse_direction_20rocsparse_operation_iiNS_24const_host_device_scalarIT1_EEPKiS9_PKS6_iiSB_lS7_PS6_l21rocsparse_index_base_b,@function
_ZN9rocsparseL31gebsrmm_general_blockdim_kernelILi32ELi32E21rocsparse_complex_numIdEEEv20rocsparse_direction_20rocsparse_operation_iiNS_24const_host_device_scalarIT1_EEPKiS9_PKS6_iiSB_lS7_PS6_l21rocsparse_index_base_b: ; @_ZN9rocsparseL31gebsrmm_general_blockdim_kernelILi32ELi32E21rocsparse_complex_numIdEEEv20rocsparse_direction_20rocsparse_operation_iiNS_24const_host_device_scalarIT1_EEPKiS9_PKS6_iiSB_lS7_PS6_l21rocsparse_index_base_b
; %bb.0:
	s_clause 0x1
	s_load_b64 s[20:21], s[0:1], 0x70
	s_load_b64 s[2:3], s[0:1], 0x10
	v_mov_b32_e32 v1, 0
	s_add_nc_u64 s[8:9], s[0:1], 16
	s_load_b128 s[4:7], s[0:1], 0x48
	s_wait_kmcnt 0x0
	s_bitcmp1_b32 s21, 0
	s_cselect_b32 s3, s9, s3
	s_cselect_b32 s2, s8, s2
	flat_load_b128 v[2:5], v1, s[2:3]
	s_wait_xcnt 0x0
	s_add_nc_u64 s[2:3], s[0:1], 0x50
	s_delay_alu instid0(SALU_CYCLE_1)
	s_cselect_b32 s3, s3, s7
	s_cselect_b32 s2, s2, s6
	flat_load_b128 v[6:9], v1, s[2:3]
	s_wait_loadcnt_dscnt 0x101
	v_cmp_eq_f64_e32 vcc_lo, 0, v[2:3]
	s_wait_xcnt 0x0
	v_cmp_eq_f64_e64 s2, 0, v[4:5]
	s_and_b32 s6, vcc_lo, s2
	s_mov_b32 s2, -1
	s_and_saveexec_b32 s3, s6
	s_cbranch_execz .LBB3_2
; %bb.1:
	s_wait_loadcnt_dscnt 0x0
	v_cmp_neq_f64_e32 vcc_lo, 1.0, v[6:7]
	v_cmp_neq_f64_e64 s2, 0, v[8:9]
	s_or_b32 s2, vcc_lo, s2
	s_delay_alu instid0(SALU_CYCLE_1)
	s_or_not1_b32 s2, s2, exec_lo
.LBB3_2:
	s_or_b32 exec_lo, exec_lo, s3
	s_and_saveexec_b32 s3, s2
	s_cbranch_execz .LBB3_49
; %bb.3:
	s_load_b128 s[12:15], s[0:1], 0x0
	s_bfe_u32 s2, ttmp6, 0x4000c
	s_and_b32 s3, ttmp6, 15
	s_add_co_i32 s2, s2, 1
	s_mov_b32 s21, 0
	s_mul_i32 s6, ttmp9, s2
	s_getreg_b32 s2, hwreg(HW_REG_IB_STS2, 6, 4)
	s_add_co_i32 s3, s3, s6
	s_cmp_eq_u32 s2, 0
	s_cselect_b32 s22, ttmp9, s3
	s_wait_kmcnt 0x0
	s_cmp_lt_i32 s22, s14
	s_cselect_b32 s3, -1, 0
	s_cmp_ge_i32 s22, s14
	s_mov_b32 s14, 0
	s_cbranch_scc1 .LBB3_5
; %bb.4:
	s_load_b64 s[6:7], s[0:1], 0x20
	s_ashr_i32 s23, s22, 31
	s_delay_alu instid0(SALU_CYCLE_1)
	s_lshl_b64 s[8:9], s[22:23], 2
	s_wait_kmcnt 0x0
	s_add_nc_u64 s[6:7], s[6:7], s[8:9]
	s_load_b64 s[8:9], s[6:7], 0x0
	s_wait_kmcnt 0x0
	s_sub_co_i32 s21, s8, s20
	s_sub_co_i32 s14, s9, s20
.LBB3_5:
	s_load_b64 s[6:7], s[0:1], 0x38
	s_wait_kmcnt 0x0
	s_cmp_lt_i32 s6, 1
	s_cbranch_scc1 .LBB3_49
; %bb.6:
	s_bfe_u32 s8, ttmp6, 0x40010
	s_load_b128 s[16:19], s[0:1], 0x60
	s_add_co_i32 s8, s8, 1
	s_bfe_u32 s9, ttmp6, 0x40004
	s_mul_i32 s8, ttmp7, s8
	v_bfe_u32 v24, v0, 10, 10
	s_add_co_i32 s9, s9, s8
	s_cmp_eq_u32 s2, 0
	v_and_b32_e32 v25, 0x3ff, v0
	s_cselect_b32 s2, ttmp7, s9
	s_wait_loadcnt_dscnt 0x0
	v_cmp_neq_f64_e32 vcc_lo, 0, v[6:7]
	v_lshl_add_u32 v10, s2, 5, v24
	v_cmp_neq_f64_e64 s2, 0, v[8:9]
	s_clause 0x1
	s_load_b64 s[24:25], s[0:1], 0x40
	s_load_b128 s[8:11], s[0:1], 0x28
	v_lshlrev_b32_e32 v18, 9, v24
	s_cmp_lt_i32 s21, s14
	v_dual_ashrrev_i32 v11, 31, v10 :: v_dual_lshlrev_b32 v26, 4, v25
	s_wait_xcnt 0x0
	v_cmp_gt_i32_e64 s0, s15, v10
	v_add_nc_u32_e32 v27, 0x4000, v18
	s_delay_alu instid0(VALU_DEP_3)
	v_mul_u64_e32 v[12:13], s[4:5], v[10:11]
	s_wait_kmcnt 0x0
	v_mul_u64_e32 v[16:17], s[18:19], v[10:11]
	v_or_b32_e32 v0, 0x4000, v26
	s_mul_i32 s19, s6, s22
	s_cselect_b32 s22, -1, 0
	s_cmp_gt_i32 s7, 0
	s_delay_alu instid0(VALU_DEP_1)
	v_dual_add_nc_u32 v29, v26, v18 :: v_dual_add_nc_u32 v28, v0, v18
	s_cselect_b32 s23, -1, 0
	s_cmp_lg_u32 s13, 0x6f
	s_mov_b32 s18, 0
	v_lshl_add_u64 v[0:1], v[10:11], 4, s[24:25]
	s_cselect_b32 s13, -1, 0
	s_cmp_lg_u32 s12, 0
	s_cselect_b32 s12, -1, 0
	s_and_b32 s15, s3, s0
	v_lshl_add_u64 v[14:15], v[12:13], 4, s[24:25]
	v_lshl_add_u64 v[16:17], v[16:17], 4, s[16:17]
	s_or_b32 s16, vcc_lo, s2
	s_branch .LBB3_8
.LBB3_7:                                ;   in Loop: Header=BB3_8 Depth=1
	s_wait_xcnt 0x0
	s_or_b32 exec_lo, exec_lo, s1
	s_add_co_i32 s18, s18, 32
	s_delay_alu instid0(SALU_CYCLE_1)
	s_cmp_lt_i32 s18, s6
	s_cbranch_scc0 .LBB3_49
.LBB3_8:                                ; =>This Loop Header: Depth=1
                                        ;     Child Loop BB3_11 Depth 2
                                        ;       Child Loop BB3_13 Depth 3
                                        ;         Child Loop BB3_25 Depth 4
	v_add_nc_u32_e32 v30, s18, v25
	v_mov_b64_e32 v[18:19], 0
	v_mov_b64_e32 v[20:21], 0
	s_and_not1_b32 vcc_lo, exec_lo, s22
	s_delay_alu instid0(VALU_DEP_3)
	v_cmp_gt_i32_e64 s1, s6, v30
	s_cbranch_vccnz .LBB3_44
; %bb.9:                                ;   in Loop: Header=BB3_8 Depth=1
	v_mov_b64_e32 v[18:19], 0
	v_mov_b64_e32 v[20:21], 0
	s_mov_b32 s2, s21
	s_branch .LBB3_11
.LBB3_10:                               ;   in Loop: Header=BB3_11 Depth=2
	s_add_co_i32 s2, s2, 1
	s_delay_alu instid0(SALU_CYCLE_1)
	s_cmp_ge_i32 s2, s14
	s_cbranch_scc1 .LBB3_44
.LBB3_11:                               ;   Parent Loop BB3_8 Depth=1
                                        ; =>  This Loop Header: Depth=2
                                        ;       Child Loop BB3_13 Depth 3
                                        ;         Child Loop BB3_25 Depth 4
	s_and_not1_b32 vcc_lo, exec_lo, s23
	s_cbranch_vccnz .LBB3_10
; %bb.12:                               ;   in Loop: Header=BB3_11 Depth=2
	s_ashr_i32 s3, s2, 31
	v_mad_u32 v10, s2, s6, v30
	s_lshl_b64 s[24:25], s[2:3], 2
	s_delay_alu instid0(SALU_CYCLE_1) | instskip(SKIP_3) | instid1(VALU_DEP_1)
	s_add_nc_u64 s[24:25], s[8:9], s[24:25]
	s_load_b32 s3, s[24:25], 0x0
	s_wait_xcnt 0x0
	s_mov_b32 s24, 0
	v_mul_lo_u32 v31, v10, s7
	s_wait_kmcnt 0x0
	s_sub_co_i32 s17, s3, s20
	s_mul_i32 s3, s2, s7
	s_mul_i32 s17, s17, s7
.LBB3_13:                               ;   Parent Loop BB3_8 Depth=1
                                        ;     Parent Loop BB3_11 Depth=2
                                        ; =>    This Loop Header: Depth=3
                                        ;         Child Loop BB3_25 Depth 4
	s_mov_b32 s26, -1
	s_and_b32 vcc_lo, exec_lo, s13
	s_mov_b32 s25, 0
                                        ; implicit-def: $vgpr22_vgpr23
	s_cbranch_vccnz .LBB3_27
; %bb.14:                               ;   in Loop: Header=BB3_13 Depth=3
	s_and_b32 vcc_lo, exec_lo, s26
	s_cbranch_vccnz .LBB3_32
.LBB3_15:                               ;   in Loop: Header=BB3_13 Depth=3
	v_mov_b64_e32 v[10:11], 0
	v_mov_b64_e32 v[12:13], 0
	s_and_saveexec_b32 s26, s25
	s_cbranch_execnz .LBB3_37
.LBB3_16:                               ;   in Loop: Header=BB3_13 Depth=3
	s_or_b32 exec_lo, exec_lo, s26
	s_delay_alu instid0(SALU_CYCLE_1)
	s_and_b32 vcc_lo, exec_lo, s12
	ds_store_b128 v28, v[10:13]
	s_cbranch_vccz .LBB3_38
.LBB3_17:                               ;   in Loop: Header=BB3_13 Depth=3
	s_mov_b32 s26, 0
	s_mov_b32 s25, 0
                                        ; implicit-def: $vgpr22
	s_and_saveexec_b32 s27, s1
	s_cbranch_execz .LBB3_21
; %bb.18:                               ;   in Loop: Header=BB3_13 Depth=3
	v_add_nc_u32_e32 v10, s24, v24
	s_mov_b32 s28, exec_lo
                                        ; implicit-def: $vgpr22
	s_delay_alu instid0(VALU_DEP_1)
	v_cmpx_gt_i32_e64 s7, v10
	s_xor_b32 s28, exec_lo, s28
; %bb.19:                               ;   in Loop: Header=BB3_13 Depth=3
	v_add_nc_u32_e32 v10, s3, v10
	s_mov_b32 s25, exec_lo
	s_delay_alu instid0(VALU_DEP_1)
	v_mad_u32 v22, v10, s6, v30
; %bb.20:                               ;   in Loop: Header=BB3_13 Depth=3
	s_or_b32 exec_lo, exec_lo, s28
	s_delay_alu instid0(SALU_CYCLE_1)
	s_and_b32 s25, s25, exec_lo
.LBB3_21:                               ;   in Loop: Header=BB3_13 Depth=3
	s_or_b32 exec_lo, exec_lo, s27
	s_delay_alu instid0(SALU_CYCLE_1)
	s_and_b32 vcc_lo, exec_lo, s26
	s_cbranch_vccnz .LBB3_39
.LBB3_22:                               ;   in Loop: Header=BB3_13 Depth=3
	v_mov_b64_e32 v[10:11], 0
	v_mov_b64_e32 v[12:13], 0
	s_and_saveexec_b32 s26, s25
	s_cbranch_execz .LBB3_24
.LBB3_23:                               ;   in Loop: Header=BB3_13 Depth=3
	global_load_b128 v[10:13], v22, s[10:11] scale_offset
.LBB3_24:                               ;   in Loop: Header=BB3_13 Depth=3
	s_wait_xcnt 0x0
	s_or_b32 exec_lo, exec_lo, s26
	s_wait_loadcnt 0x0
	ds_store_b128 v29, v[10:13]
	v_mov_b32_e32 v10, v26
	s_mov_b32 s25, 0
	s_wait_dscnt 0x0
	s_barrier_signal -1
	s_barrier_wait -1
.LBB3_25:                               ;   Parent Loop BB3_8 Depth=1
                                        ;     Parent Loop BB3_11 Depth=2
                                        ;       Parent Loop BB3_13 Depth=3
                                        ; =>      This Inner Loop Header: Depth=4
	v_add_nc_u32_e32 v11, s25, v27
	s_addk_co_i32 s25, 0x80
	ds_load_b128 v[32:35], v10
	ds_load_b128 v[36:39], v11
	ds_load_b128 v[40:43], v10 offset:512
	ds_load_b128 v[44:47], v11 offset:16
	s_cmp_eq_u32 s25, 0x200
	s_wait_dscnt 0x2
	v_fmac_f64_e32 v[20:21], v[32:33], v[36:37]
	v_fmac_f64_e32 v[18:19], v[34:35], v[36:37]
	s_delay_alu instid0(VALU_DEP_2) | instskip(NEXT) | instid1(VALU_DEP_2)
	v_fma_f64 v[12:13], -v[34:35], v[38:39], v[20:21]
	v_fmac_f64_e32 v[18:19], v[32:33], v[38:39]
	s_wait_dscnt 0x0
	s_delay_alu instid0(VALU_DEP_2) | instskip(NEXT) | instid1(VALU_DEP_2)
	v_fmac_f64_e32 v[12:13], v[40:41], v[44:45]
	v_fmac_f64_e32 v[18:19], v[42:43], v[44:45]
	s_delay_alu instid0(VALU_DEP_2) | instskip(NEXT) | instid1(VALU_DEP_2)
	v_fma_f64 v[12:13], -v[42:43], v[46:47], v[12:13]
	v_fmac_f64_e32 v[18:19], v[40:41], v[46:47]
	ds_load_b128 v[20:23], v10 offset:1024
	ds_load_b128 v[32:35], v11 offset:32
	ds_load_b128 v[36:39], v10 offset:1536
	ds_load_b128 v[40:43], v11 offset:48
	s_wait_dscnt 0x2
	v_fmac_f64_e32 v[12:13], v[20:21], v[32:33]
	v_fmac_f64_e32 v[18:19], v[22:23], v[32:33]
	s_delay_alu instid0(VALU_DEP_2) | instskip(NEXT) | instid1(VALU_DEP_2)
	v_fma_f64 v[12:13], -v[22:23], v[34:35], v[12:13]
	v_fmac_f64_e32 v[18:19], v[20:21], v[34:35]
	s_wait_dscnt 0x0
	s_delay_alu instid0(VALU_DEP_2) | instskip(NEXT) | instid1(VALU_DEP_2)
	v_fmac_f64_e32 v[12:13], v[36:37], v[40:41]
	v_fmac_f64_e32 v[18:19], v[38:39], v[40:41]
	s_delay_alu instid0(VALU_DEP_2) | instskip(NEXT) | instid1(VALU_DEP_2)
	v_fma_f64 v[12:13], -v[38:39], v[42:43], v[12:13]
	v_fmac_f64_e32 v[18:19], v[36:37], v[42:43]
	ds_load_b128 v[20:23], v10 offset:2048
	ds_load_b128 v[32:35], v11 offset:64
	ds_load_b128 v[36:39], v10 offset:2560
	ds_load_b128 v[40:43], v11 offset:80
	;; [unrolled: 17-line block ×3, first 2 shown]
	v_add_nc_u32_e32 v10, 0x1000, v10
	s_wait_dscnt 0x2
	v_fmac_f64_e32 v[12:13], v[20:21], v[32:33]
	v_fmac_f64_e32 v[18:19], v[22:23], v[32:33]
	s_delay_alu instid0(VALU_DEP_2) | instskip(NEXT) | instid1(VALU_DEP_2)
	v_fma_f64 v[12:13], -v[22:23], v[34:35], v[12:13]
	v_fmac_f64_e32 v[18:19], v[20:21], v[34:35]
	s_wait_dscnt 0x0
	s_delay_alu instid0(VALU_DEP_2) | instskip(NEXT) | instid1(VALU_DEP_2)
	v_fmac_f64_e32 v[12:13], v[36:37], v[40:41]
	v_fmac_f64_e32 v[18:19], v[38:39], v[40:41]
	s_delay_alu instid0(VALU_DEP_2) | instskip(NEXT) | instid1(VALU_DEP_2)
	v_fma_f64 v[20:21], -v[38:39], v[42:43], v[12:13]
	v_fmac_f64_e32 v[18:19], v[36:37], v[42:43]
	s_cbranch_scc0 .LBB3_25
; %bb.26:                               ;   in Loop: Header=BB3_13 Depth=3
	s_add_co_i32 s24, s24, 32
	s_delay_alu instid0(SALU_CYCLE_1)
	s_cmp_ge_i32 s24, s7
	s_barrier_signal -1
	s_barrier_wait -1
	s_cbranch_scc0 .LBB3_13
	s_branch .LBB3_10
.LBB3_27:                               ;   in Loop: Header=BB3_13 Depth=3
	s_mov_b32 s26, 0
                                        ; implicit-def: $vgpr22_vgpr23
	s_and_saveexec_b32 s27, s0
	s_cbranch_execz .LBB3_31
; %bb.28:                               ;   in Loop: Header=BB3_13 Depth=3
	v_add_nc_u32_e32 v10, s24, v25
	s_mov_b32 s28, exec_lo
                                        ; implicit-def: $vgpr22_vgpr23
	s_delay_alu instid0(VALU_DEP_1)
	v_cmpx_gt_i32_e64 s7, v10
	s_xor_b32 s28, exec_lo, s28
	s_cbranch_execz .LBB3_30
; %bb.29:                               ;   in Loop: Header=BB3_13 Depth=3
	v_add_nc_u32_e32 v10, s17, v10
	s_mov_b32 s25, exec_lo
	s_delay_alu instid0(VALU_DEP_1) | instskip(NEXT) | instid1(VALU_DEP_1)
	v_ashrrev_i32_e32 v11, 31, v10
	v_mul_u64_e32 v[10:11], s[4:5], v[10:11]
	s_delay_alu instid0(VALU_DEP_1)
	v_lshl_add_u64 v[22:23], v[10:11], 4, v[0:1]
.LBB3_30:                               ;   in Loop: Header=BB3_13 Depth=3
	s_or_b32 exec_lo, exec_lo, s28
	s_delay_alu instid0(SALU_CYCLE_1)
	s_and_b32 s25, s25, exec_lo
.LBB3_31:                               ;   in Loop: Header=BB3_13 Depth=3
	s_or_b32 exec_lo, exec_lo, s27
	s_delay_alu instid0(SALU_CYCLE_1)
	s_and_b32 vcc_lo, exec_lo, s26
	s_cbranch_vccz .LBB3_15
.LBB3_32:                               ;   in Loop: Header=BB3_13 Depth=3
                                        ; implicit-def: $vgpr22_vgpr23
	s_and_saveexec_b32 s26, s0
	s_cbranch_execz .LBB3_36
; %bb.33:                               ;   in Loop: Header=BB3_13 Depth=3
	v_add_nc_u32_e32 v10, s24, v25
	s_mov_b32 s28, s25
	s_mov_b32 s27, exec_lo
                                        ; implicit-def: $vgpr22_vgpr23
	s_delay_alu instid0(VALU_DEP_1)
	v_cmpx_gt_i32_e64 s7, v10
; %bb.34:                               ;   in Loop: Header=BB3_13 Depth=3
	v_add_nc_u32_e32 v10, s17, v10
	s_or_b32 s28, s25, exec_lo
	s_delay_alu instid0(VALU_DEP_1) | instskip(NEXT) | instid1(VALU_DEP_1)
	v_ashrrev_i32_e32 v11, 31, v10
	v_lshl_add_u64 v[22:23], v[10:11], 4, v[14:15]
; %bb.35:                               ;   in Loop: Header=BB3_13 Depth=3
	s_or_b32 exec_lo, exec_lo, s27
	s_delay_alu instid0(SALU_CYCLE_1) | instskip(SKIP_1) | instid1(SALU_CYCLE_1)
	s_and_not1_b32 s25, s25, exec_lo
	s_and_b32 s27, s28, exec_lo
	s_or_b32 s25, s25, s27
.LBB3_36:                               ;   in Loop: Header=BB3_13 Depth=3
	s_or_b32 exec_lo, exec_lo, s26
	v_mov_b64_e32 v[10:11], 0
	v_mov_b64_e32 v[12:13], 0
	s_and_saveexec_b32 s26, s25
	s_cbranch_execz .LBB3_16
.LBB3_37:                               ;   in Loop: Header=BB3_13 Depth=3
	global_load_b128 v[10:13], v[22:23], off
	s_wait_xcnt 0x0
	s_or_b32 exec_lo, exec_lo, s26
	s_delay_alu instid0(SALU_CYCLE_1)
	s_and_b32 vcc_lo, exec_lo, s12
	s_wait_loadcnt 0x0
	ds_store_b128 v28, v[10:13]
	s_cbranch_vccnz .LBB3_17
.LBB3_38:                               ;   in Loop: Header=BB3_13 Depth=3
	s_mov_b32 s25, 0
                                        ; implicit-def: $vgpr22
	s_cbranch_execz .LBB3_22
.LBB3_39:                               ;   in Loop: Header=BB3_13 Depth=3
                                        ; implicit-def: $vgpr22
	s_and_saveexec_b32 s26, s1
	s_cbranch_execz .LBB3_43
; %bb.40:                               ;   in Loop: Header=BB3_13 Depth=3
	v_add_nc_u32_e32 v10, s24, v24
	s_mov_b32 s27, s25
	s_mov_b32 s28, exec_lo
                                        ; implicit-def: $vgpr22
	s_delay_alu instid0(VALU_DEP_1)
	v_cmpx_gt_i32_e64 s7, v10
; %bb.41:                               ;   in Loop: Header=BB3_13 Depth=3
	v_add_nc_u32_e32 v22, v10, v31
	s_or_b32 s27, s25, exec_lo
; %bb.42:                               ;   in Loop: Header=BB3_13 Depth=3
	s_or_b32 exec_lo, exec_lo, s28
	s_delay_alu instid0(SALU_CYCLE_1) | instskip(SKIP_1) | instid1(SALU_CYCLE_1)
	s_and_not1_b32 s25, s25, exec_lo
	s_and_b32 s27, s27, exec_lo
	s_or_b32 s25, s25, s27
.LBB3_43:                               ;   in Loop: Header=BB3_13 Depth=3
	s_or_b32 exec_lo, exec_lo, s26
	v_mov_b64_e32 v[10:11], 0
	v_mov_b64_e32 v[12:13], 0
	s_and_saveexec_b32 s26, s25
	s_cbranch_execnz .LBB3_23
	s_branch .LBB3_24
.LBB3_44:                               ;   in Loop: Header=BB3_8 Depth=1
	v_cmp_gt_i32_e32 vcc_lo, s6, v30
	s_and_b32 s2, s15, vcc_lo
	s_delay_alu instid0(SALU_CYCLE_1)
	s_and_saveexec_b32 s1, s2
	s_cbranch_execz .LBB3_7
; %bb.45:                               ;   in Loop: Header=BB3_8 Depth=1
	s_delay_alu instid0(VALU_DEP_2) | instskip(SKIP_2) | instid1(VALU_DEP_1)
	v_mul_f64_e64 v[10:11], v[18:19], -v[4:5]
	v_mul_f64_e32 v[12:13], v[2:3], v[18:19]
	v_add_nc_u32_e32 v18, s19, v30
	v_ashrrev_i32_e32 v19, 31, v18
	s_delay_alu instid0(VALU_DEP_4) | instskip(NEXT) | instid1(VALU_DEP_4)
	v_fmac_f64_e32 v[10:11], v[2:3], v[20:21]
	v_fmac_f64_e32 v[12:13], v[4:5], v[20:21]
	s_and_saveexec_b32 s2, s16
	s_delay_alu instid0(SALU_CYCLE_1)
	s_xor_b32 s2, exec_lo, s2
	s_cbranch_execz .LBB3_47
; %bb.46:                               ;   in Loop: Header=BB3_8 Depth=1
	v_lshl_add_u64 v[22:23], v[18:19], 4, v[16:17]
	global_load_b128 v[18:21], v[22:23], off
	s_wait_loadcnt 0x0
	v_fmac_f64_e32 v[10:11], v[6:7], v[18:19]
	v_fmac_f64_e32 v[12:13], v[8:9], v[18:19]
                                        ; implicit-def: $vgpr18
	s_delay_alu instid0(VALU_DEP_2) | instskip(NEXT) | instid1(VALU_DEP_2)
	v_fma_f64 v[10:11], -v[8:9], v[20:21], v[10:11]
	v_fmac_f64_e32 v[12:13], v[6:7], v[20:21]
	global_store_b128 v[22:23], v[10:13], off
                                        ; implicit-def: $vgpr10_vgpr11
.LBB3_47:                               ;   in Loop: Header=BB3_8 Depth=1
	s_wait_xcnt 0x0
	s_and_not1_saveexec_b32 s2, s2
	s_cbranch_execz .LBB3_7
; %bb.48:                               ;   in Loop: Header=BB3_8 Depth=1
	v_lshl_add_u64 v[18:19], v[18:19], 4, v[16:17]
	global_store_b128 v[18:19], v[10:13], off
	s_branch .LBB3_7
.LBB3_49:
	s_endpgm
	.section	.rodata,"a",@progbits
	.p2align	6, 0x0
	.amdhsa_kernel _ZN9rocsparseL31gebsrmm_general_blockdim_kernelILi32ELi32E21rocsparse_complex_numIdEEEv20rocsparse_direction_20rocsparse_operation_iiNS_24const_host_device_scalarIT1_EEPKiS9_PKS6_iiSB_lS7_PS6_l21rocsparse_index_base_b
		.amdhsa_group_segment_fixed_size 32768
		.amdhsa_private_segment_fixed_size 0
		.amdhsa_kernarg_size 120
		.amdhsa_user_sgpr_count 2
		.amdhsa_user_sgpr_dispatch_ptr 0
		.amdhsa_user_sgpr_queue_ptr 0
		.amdhsa_user_sgpr_kernarg_segment_ptr 1
		.amdhsa_user_sgpr_dispatch_id 0
		.amdhsa_user_sgpr_kernarg_preload_length 0
		.amdhsa_user_sgpr_kernarg_preload_offset 0
		.amdhsa_user_sgpr_private_segment_size 0
		.amdhsa_wavefront_size32 1
		.amdhsa_uses_dynamic_stack 0
		.amdhsa_enable_private_segment 0
		.amdhsa_system_sgpr_workgroup_id_x 1
		.amdhsa_system_sgpr_workgroup_id_y 1
		.amdhsa_system_sgpr_workgroup_id_z 0
		.amdhsa_system_sgpr_workgroup_info 0
		.amdhsa_system_vgpr_workitem_id 1
		.amdhsa_next_free_vgpr 48
		.amdhsa_next_free_sgpr 29
		.amdhsa_named_barrier_count 0
		.amdhsa_reserve_vcc 1
		.amdhsa_float_round_mode_32 0
		.amdhsa_float_round_mode_16_64 0
		.amdhsa_float_denorm_mode_32 3
		.amdhsa_float_denorm_mode_16_64 3
		.amdhsa_fp16_overflow 0
		.amdhsa_memory_ordered 1
		.amdhsa_forward_progress 1
		.amdhsa_inst_pref_size 15
		.amdhsa_round_robin_scheduling 0
		.amdhsa_exception_fp_ieee_invalid_op 0
		.amdhsa_exception_fp_denorm_src 0
		.amdhsa_exception_fp_ieee_div_zero 0
		.amdhsa_exception_fp_ieee_overflow 0
		.amdhsa_exception_fp_ieee_underflow 0
		.amdhsa_exception_fp_ieee_inexact 0
		.amdhsa_exception_int_div_zero 0
	.end_amdhsa_kernel
	.section	.text._ZN9rocsparseL31gebsrmm_general_blockdim_kernelILi32ELi32E21rocsparse_complex_numIdEEEv20rocsparse_direction_20rocsparse_operation_iiNS_24const_host_device_scalarIT1_EEPKiS9_PKS6_iiSB_lS7_PS6_l21rocsparse_index_base_b,"axG",@progbits,_ZN9rocsparseL31gebsrmm_general_blockdim_kernelILi32ELi32E21rocsparse_complex_numIdEEEv20rocsparse_direction_20rocsparse_operation_iiNS_24const_host_device_scalarIT1_EEPKiS9_PKS6_iiSB_lS7_PS6_l21rocsparse_index_base_b,comdat
.Lfunc_end3:
	.size	_ZN9rocsparseL31gebsrmm_general_blockdim_kernelILi32ELi32E21rocsparse_complex_numIdEEEv20rocsparse_direction_20rocsparse_operation_iiNS_24const_host_device_scalarIT1_EEPKiS9_PKS6_iiSB_lS7_PS6_l21rocsparse_index_base_b, .Lfunc_end3-_ZN9rocsparseL31gebsrmm_general_blockdim_kernelILi32ELi32E21rocsparse_complex_numIdEEEv20rocsparse_direction_20rocsparse_operation_iiNS_24const_host_device_scalarIT1_EEPKiS9_PKS6_iiSB_lS7_PS6_l21rocsparse_index_base_b
                                        ; -- End function
	.set _ZN9rocsparseL31gebsrmm_general_blockdim_kernelILi32ELi32E21rocsparse_complex_numIdEEEv20rocsparse_direction_20rocsparse_operation_iiNS_24const_host_device_scalarIT1_EEPKiS9_PKS6_iiSB_lS7_PS6_l21rocsparse_index_base_b.num_vgpr, 48
	.set _ZN9rocsparseL31gebsrmm_general_blockdim_kernelILi32ELi32E21rocsparse_complex_numIdEEEv20rocsparse_direction_20rocsparse_operation_iiNS_24const_host_device_scalarIT1_EEPKiS9_PKS6_iiSB_lS7_PS6_l21rocsparse_index_base_b.num_agpr, 0
	.set _ZN9rocsparseL31gebsrmm_general_blockdim_kernelILi32ELi32E21rocsparse_complex_numIdEEEv20rocsparse_direction_20rocsparse_operation_iiNS_24const_host_device_scalarIT1_EEPKiS9_PKS6_iiSB_lS7_PS6_l21rocsparse_index_base_b.numbered_sgpr, 29
	.set _ZN9rocsparseL31gebsrmm_general_blockdim_kernelILi32ELi32E21rocsparse_complex_numIdEEEv20rocsparse_direction_20rocsparse_operation_iiNS_24const_host_device_scalarIT1_EEPKiS9_PKS6_iiSB_lS7_PS6_l21rocsparse_index_base_b.num_named_barrier, 0
	.set _ZN9rocsparseL31gebsrmm_general_blockdim_kernelILi32ELi32E21rocsparse_complex_numIdEEEv20rocsparse_direction_20rocsparse_operation_iiNS_24const_host_device_scalarIT1_EEPKiS9_PKS6_iiSB_lS7_PS6_l21rocsparse_index_base_b.private_seg_size, 0
	.set _ZN9rocsparseL31gebsrmm_general_blockdim_kernelILi32ELi32E21rocsparse_complex_numIdEEEv20rocsparse_direction_20rocsparse_operation_iiNS_24const_host_device_scalarIT1_EEPKiS9_PKS6_iiSB_lS7_PS6_l21rocsparse_index_base_b.uses_vcc, 1
	.set _ZN9rocsparseL31gebsrmm_general_blockdim_kernelILi32ELi32E21rocsparse_complex_numIdEEEv20rocsparse_direction_20rocsparse_operation_iiNS_24const_host_device_scalarIT1_EEPKiS9_PKS6_iiSB_lS7_PS6_l21rocsparse_index_base_b.uses_flat_scratch, 0
	.set _ZN9rocsparseL31gebsrmm_general_blockdim_kernelILi32ELi32E21rocsparse_complex_numIdEEEv20rocsparse_direction_20rocsparse_operation_iiNS_24const_host_device_scalarIT1_EEPKiS9_PKS6_iiSB_lS7_PS6_l21rocsparse_index_base_b.has_dyn_sized_stack, 0
	.set _ZN9rocsparseL31gebsrmm_general_blockdim_kernelILi32ELi32E21rocsparse_complex_numIdEEEv20rocsparse_direction_20rocsparse_operation_iiNS_24const_host_device_scalarIT1_EEPKiS9_PKS6_iiSB_lS7_PS6_l21rocsparse_index_base_b.has_recursion, 0
	.set _ZN9rocsparseL31gebsrmm_general_blockdim_kernelILi32ELi32E21rocsparse_complex_numIdEEEv20rocsparse_direction_20rocsparse_operation_iiNS_24const_host_device_scalarIT1_EEPKiS9_PKS6_iiSB_lS7_PS6_l21rocsparse_index_base_b.has_indirect_call, 0
	.section	.AMDGPU.csdata,"",@progbits
; Kernel info:
; codeLenInByte = 1884
; TotalNumSgprs: 31
; NumVgprs: 48
; ScratchSize: 0
; MemoryBound: 1
; FloatMode: 240
; IeeeMode: 1
; LDSByteSize: 32768 bytes/workgroup (compile time only)
; SGPRBlocks: 0
; VGPRBlocks: 2
; NumSGPRsForWavesPerEU: 31
; NumVGPRsForWavesPerEU: 48
; NamedBarCnt: 0
; Occupancy: 16
; WaveLimiterHint : 0
; COMPUTE_PGM_RSRC2:SCRATCH_EN: 0
; COMPUTE_PGM_RSRC2:USER_SGPR: 2
; COMPUTE_PGM_RSRC2:TRAP_HANDLER: 0
; COMPUTE_PGM_RSRC2:TGID_X_EN: 1
; COMPUTE_PGM_RSRC2:TGID_Y_EN: 1
; COMPUTE_PGM_RSRC2:TGID_Z_EN: 0
; COMPUTE_PGM_RSRC2:TIDIG_COMP_CNT: 1
	.section	.AMDGPU.gpr_maximums,"",@progbits
	.set amdgpu.max_num_vgpr, 0
	.set amdgpu.max_num_agpr, 0
	.set amdgpu.max_num_sgpr, 0
	.section	.AMDGPU.csdata,"",@progbits
	.type	__hip_cuid_d50e4baad5bef4e7,@object ; @__hip_cuid_d50e4baad5bef4e7
	.section	.bss,"aw",@nobits
	.globl	__hip_cuid_d50e4baad5bef4e7
__hip_cuid_d50e4baad5bef4e7:
	.byte	0                               ; 0x0
	.size	__hip_cuid_d50e4baad5bef4e7, 1

	.ident	"AMD clang version 22.0.0git (https://github.com/RadeonOpenCompute/llvm-project roc-7.2.4 26084 f58b06dce1f9c15707c5f808fd002e18c2accf7e)"
	.section	".note.GNU-stack","",@progbits
	.addrsig
	.addrsig_sym __hip_cuid_d50e4baad5bef4e7
	.amdgpu_metadata
---
amdhsa.kernels:
  - .args:
      - .offset:         0
        .size:           4
        .value_kind:     by_value
      - .offset:         4
        .size:           4
        .value_kind:     by_value
      - .offset:         8
        .size:           4
        .value_kind:     by_value
      - .offset:         12
        .size:           4
        .value_kind:     by_value
      - .offset:         16
        .size:           8
        .value_kind:     by_value
      - .actual_access:  read_only
        .address_space:  global
        .offset:         24
        .size:           8
        .value_kind:     global_buffer
      - .actual_access:  read_only
        .address_space:  global
        .offset:         32
        .size:           8
        .value_kind:     global_buffer
      - .actual_access:  read_only
        .address_space:  global
        .offset:         40
        .size:           8
        .value_kind:     global_buffer
      - .offset:         48
        .size:           4
        .value_kind:     by_value
      - .offset:         52
        .size:           4
        .value_kind:     by_value
      - .actual_access:  read_only
        .address_space:  global
        .offset:         56
        .size:           8
        .value_kind:     global_buffer
      - .offset:         64
        .size:           8
        .value_kind:     by_value
      - .offset:         72
        .size:           8
        .value_kind:     by_value
      - .address_space:  global
        .offset:         80
        .size:           8
        .value_kind:     global_buffer
      - .offset:         88
        .size:           8
        .value_kind:     by_value
      - .offset:         96
        .size:           4
        .value_kind:     by_value
      - .offset:         100
        .size:           1
        .value_kind:     by_value
    .group_segment_fixed_size: 8192
    .kernarg_segment_align: 8
    .kernarg_segment_size: 104
    .language:       OpenCL C
    .language_version:
      - 2
      - 0
    .max_flat_workgroup_size: 1024
    .name:           _ZN9rocsparseL31gebsrmm_general_blockdim_kernelILi32ELi32EfEEv20rocsparse_direction_20rocsparse_operation_iiNS_24const_host_device_scalarIT1_EEPKiS7_PKS4_iiS9_lS5_PS4_l21rocsparse_index_base_b
    .private_segment_fixed_size: 0
    .sgpr_count:     34
    .sgpr_spill_count: 0
    .symbol:         _ZN9rocsparseL31gebsrmm_general_blockdim_kernelILi32ELi32EfEEv20rocsparse_direction_20rocsparse_operation_iiNS_24const_host_device_scalarIT1_EEPKiS7_PKS4_iiS9_lS5_PS4_l21rocsparse_index_base_b.kd
    .uniform_work_group_size: 1
    .uses_dynamic_stack: false
    .vgpr_count:     34
    .vgpr_spill_count: 0
    .wavefront_size: 32
  - .args:
      - .offset:         0
        .size:           4
        .value_kind:     by_value
      - .offset:         4
        .size:           4
        .value_kind:     by_value
      - .offset:         8
        .size:           4
        .value_kind:     by_value
      - .offset:         12
        .size:           4
        .value_kind:     by_value
      - .offset:         16
        .size:           8
        .value_kind:     by_value
      - .actual_access:  read_only
        .address_space:  global
        .offset:         24
        .size:           8
        .value_kind:     global_buffer
      - .actual_access:  read_only
        .address_space:  global
        .offset:         32
        .size:           8
        .value_kind:     global_buffer
      - .actual_access:  read_only
        .address_space:  global
        .offset:         40
        .size:           8
        .value_kind:     global_buffer
      - .offset:         48
        .size:           4
        .value_kind:     by_value
      - .offset:         52
        .size:           4
        .value_kind:     by_value
      - .actual_access:  read_only
        .address_space:  global
        .offset:         56
        .size:           8
        .value_kind:     global_buffer
      - .offset:         64
        .size:           8
        .value_kind:     by_value
      - .offset:         72
        .size:           8
        .value_kind:     by_value
      - .address_space:  global
        .offset:         80
        .size:           8
        .value_kind:     global_buffer
      - .offset:         88
        .size:           8
        .value_kind:     by_value
      - .offset:         96
        .size:           4
        .value_kind:     by_value
      - .offset:         100
        .size:           1
        .value_kind:     by_value
    .group_segment_fixed_size: 16384
    .kernarg_segment_align: 8
    .kernarg_segment_size: 104
    .language:       OpenCL C
    .language_version:
      - 2
      - 0
    .max_flat_workgroup_size: 1024
    .name:           _ZN9rocsparseL31gebsrmm_general_blockdim_kernelILi32ELi32EdEEv20rocsparse_direction_20rocsparse_operation_iiNS_24const_host_device_scalarIT1_EEPKiS7_PKS4_iiS9_lS5_PS4_l21rocsparse_index_base_b
    .private_segment_fixed_size: 0
    .sgpr_count:     32
    .sgpr_spill_count: 0
    .symbol:         _ZN9rocsparseL31gebsrmm_general_blockdim_kernelILi32ELi32EdEEv20rocsparse_direction_20rocsparse_operation_iiNS_24const_host_device_scalarIT1_EEPKiS7_PKS4_iiS9_lS5_PS4_l21rocsparse_index_base_b.kd
    .uniform_work_group_size: 1
    .uses_dynamic_stack: false
    .vgpr_count:     40
    .vgpr_spill_count: 0
    .wavefront_size: 32
  - .args:
      - .offset:         0
        .size:           4
        .value_kind:     by_value
      - .offset:         4
        .size:           4
        .value_kind:     by_value
      - .offset:         8
        .size:           4
        .value_kind:     by_value
      - .offset:         12
        .size:           4
        .value_kind:     by_value
      - .offset:         16
        .size:           8
        .value_kind:     by_value
      - .actual_access:  read_only
        .address_space:  global
        .offset:         24
        .size:           8
        .value_kind:     global_buffer
      - .actual_access:  read_only
        .address_space:  global
        .offset:         32
        .size:           8
        .value_kind:     global_buffer
      - .actual_access:  read_only
        .address_space:  global
        .offset:         40
        .size:           8
        .value_kind:     global_buffer
      - .offset:         48
        .size:           4
        .value_kind:     by_value
      - .offset:         52
        .size:           4
        .value_kind:     by_value
      - .actual_access:  read_only
        .address_space:  global
        .offset:         56
        .size:           8
        .value_kind:     global_buffer
      - .offset:         64
        .size:           8
        .value_kind:     by_value
      - .offset:         72
        .size:           8
        .value_kind:     by_value
      - .address_space:  global
        .offset:         80
        .size:           8
        .value_kind:     global_buffer
      - .offset:         88
        .size:           8
        .value_kind:     by_value
      - .offset:         96
        .size:           4
        .value_kind:     by_value
      - .offset:         100
        .size:           1
        .value_kind:     by_value
    .group_segment_fixed_size: 16384
    .kernarg_segment_align: 8
    .kernarg_segment_size: 104
    .language:       OpenCL C
    .language_version:
      - 2
      - 0
    .max_flat_workgroup_size: 1024
    .name:           _ZN9rocsparseL31gebsrmm_general_blockdim_kernelILi32ELi32E21rocsparse_complex_numIfEEEv20rocsparse_direction_20rocsparse_operation_iiNS_24const_host_device_scalarIT1_EEPKiS9_PKS6_iiSB_lS7_PS6_l21rocsparse_index_base_b
    .private_segment_fixed_size: 0
    .sgpr_count:     32
    .sgpr_spill_count: 0
    .symbol:         _ZN9rocsparseL31gebsrmm_general_blockdim_kernelILi32ELi32E21rocsparse_complex_numIfEEEv20rocsparse_direction_20rocsparse_operation_iiNS_24const_host_device_scalarIT1_EEPKiS9_PKS6_iiSB_lS7_PS6_l21rocsparse_index_base_b.kd
    .uniform_work_group_size: 1
    .uses_dynamic_stack: false
    .vgpr_count:     46
    .vgpr_spill_count: 0
    .wavefront_size: 32
  - .args:
      - .offset:         0
        .size:           4
        .value_kind:     by_value
      - .offset:         4
        .size:           4
        .value_kind:     by_value
      - .offset:         8
        .size:           4
        .value_kind:     by_value
      - .offset:         12
        .size:           4
        .value_kind:     by_value
      - .offset:         16
        .size:           16
        .value_kind:     by_value
      - .actual_access:  read_only
        .address_space:  global
        .offset:         32
        .size:           8
        .value_kind:     global_buffer
      - .actual_access:  read_only
        .address_space:  global
        .offset:         40
        .size:           8
        .value_kind:     global_buffer
      - .actual_access:  read_only
        .address_space:  global
        .offset:         48
        .size:           8
        .value_kind:     global_buffer
      - .offset:         56
        .size:           4
        .value_kind:     by_value
      - .offset:         60
        .size:           4
        .value_kind:     by_value
      - .actual_access:  read_only
        .address_space:  global
        .offset:         64
        .size:           8
        .value_kind:     global_buffer
      - .offset:         72
        .size:           8
        .value_kind:     by_value
      - .offset:         80
        .size:           16
        .value_kind:     by_value
      - .address_space:  global
        .offset:         96
        .size:           8
        .value_kind:     global_buffer
      - .offset:         104
        .size:           8
        .value_kind:     by_value
      - .offset:         112
        .size:           4
        .value_kind:     by_value
      - .offset:         116
        .size:           1
        .value_kind:     by_value
    .group_segment_fixed_size: 32768
    .kernarg_segment_align: 8
    .kernarg_segment_size: 120
    .language:       OpenCL C
    .language_version:
      - 2
      - 0
    .max_flat_workgroup_size: 1024
    .name:           _ZN9rocsparseL31gebsrmm_general_blockdim_kernelILi32ELi32E21rocsparse_complex_numIdEEEv20rocsparse_direction_20rocsparse_operation_iiNS_24const_host_device_scalarIT1_EEPKiS9_PKS6_iiSB_lS7_PS6_l21rocsparse_index_base_b
    .private_segment_fixed_size: 0
    .sgpr_count:     31
    .sgpr_spill_count: 0
    .symbol:         _ZN9rocsparseL31gebsrmm_general_blockdim_kernelILi32ELi32E21rocsparse_complex_numIdEEEv20rocsparse_direction_20rocsparse_operation_iiNS_24const_host_device_scalarIT1_EEPKiS9_PKS6_iiSB_lS7_PS6_l21rocsparse_index_base_b.kd
    .uniform_work_group_size: 1
    .uses_dynamic_stack: false
    .vgpr_count:     48
    .vgpr_spill_count: 0
    .wavefront_size: 32
amdhsa.target:   amdgcn-amd-amdhsa--gfx1250
amdhsa.version:
  - 1
  - 2
...

	.end_amdgpu_metadata
